;; amdgpu-corpus repo=ROCm/rocFFT kind=compiled arch=gfx950 opt=O3
	.text
	.amdgcn_target "amdgcn-amd-amdhsa--gfx950"
	.amdhsa_code_object_version 6
	.protected	bluestein_single_fwd_len1785_dim1_sp_op_CI_CI ; -- Begin function bluestein_single_fwd_len1785_dim1_sp_op_CI_CI
	.globl	bluestein_single_fwd_len1785_dim1_sp_op_CI_CI
	.p2align	8
	.type	bluestein_single_fwd_len1785_dim1_sp_op_CI_CI,@function
bluestein_single_fwd_len1785_dim1_sp_op_CI_CI: ; @bluestein_single_fwd_len1785_dim1_sp_op_CI_CI
; %bb.0:
	s_load_dwordx4 s[12:15], s[0:1], 0x28
	v_mul_u32_u24_e32 v1, 0x227, v0
	v_mov_b32_e32 v197, 0
	v_add_u32_sdwa v2, s2, v1 dst_sel:DWORD dst_unused:UNUSED_PAD src0_sel:DWORD src1_sel:WORD_1
	v_mov_b32_e32 v3, v197
	v_accvgpr_write_b32 a2, v2
	s_waitcnt lgkmcnt(0)
	v_cmp_gt_u64_e32 vcc, s[12:13], v[2:3]
	s_and_saveexec_b64 s[2:3], vcc
	s_cbranch_execz .LBB0_23
; %bb.1:
	s_load_dwordx2 s[12:13], s[0:1], 0x0
	s_load_dwordx2 s[16:17], s[0:1], 0x38
	s_movk_i32 s2, 0x77
	v_mul_lo_u16_sdwa v1, v1, s2 dst_sel:DWORD dst_unused:UNUSED_PAD src0_sel:WORD_1 src1_sel:DWORD
	v_sub_u16_e32 v196, v0, v1
	s_movk_i32 s2, 0x69
	v_cmp_gt_u16_e64 s[6:7], s2, v196
	v_lshlrev_b32_e32 v122, 3, v196
	s_and_saveexec_b64 s[2:3], s[6:7]
	s_cbranch_execz .LBB0_3
; %bb.2:
	s_load_dwordx2 s[4:5], s[0:1], 0x18
	v_accvgpr_read_b32 v10, a2
	v_mov_b32_e32 v0, s14
	v_mov_b32_e32 v1, s15
	;; [unrolled: 1-line block ×3, first 2 shown]
	s_waitcnt lgkmcnt(0)
	s_load_dwordx4 s[8:11], s[4:5], 0x0
	v_mov_b32_e32 v123, 0
	s_waitcnt lgkmcnt(0)
	v_mad_u64_u32 v[2:3], s[4:5], s10, v10, 0
	v_mad_u64_u32 v[4:5], s[4:5], s8, v196, 0
	v_mov_b32_e32 v6, v3
	v_mov_b32_e32 v8, v5
	v_mad_u64_u32 v[6:7], s[4:5], s11, v10, v[6:7]
	v_mov_b32_e32 v3, v6
	v_mad_u64_u32 v[6:7], s[4:5], s9, v196, v[8:9]
	v_mov_b32_e32 v5, v6
	v_lshl_add_u64 v[0:1], v[2:3], 3, v[0:1]
	v_lshl_add_u64 v[2:3], v[4:5], 3, v[0:1]
	global_load_dwordx2 v[0:1], v[2:3], off
	v_mad_u64_u32 v[2:3], s[4:5], s8, v68, v[2:3]
	s_mul_i32 s4, s9, 0x348
	s_nop 0
	v_add_u32_e32 v3, s4, v3
	v_mad_u64_u32 v[6:7], s[10:11], s8, v68, v[2:3]
	v_add_u32_e32 v7, s4, v7
	v_mad_u64_u32 v[8:9], s[10:11], s8, v68, v[6:7]
	;; [unrolled: 2-line block ×3, first 2 shown]
	v_add_u32_e32 v19, s4, v19
	global_load_dwordx2 v[10:11], v122, s[12:13]
	global_load_dwordx2 v[12:13], v122, s[12:13] offset:840
	global_load_dwordx2 v[14:15], v122, s[12:13] offset:1680
	;; [unrolled: 1-line block ×3, first 2 shown]
	global_load_dwordx2 v[20:21], v[2:3], off
	global_load_dwordx2 v[22:23], v[6:7], off
	;; [unrolled: 1-line block ×4, first 2 shown]
	global_load_dwordx2 v[28:29], v122, s[12:13] offset:3360
	v_mad_u64_u32 v[2:3], s[10:11], s8, v68, v[18:19]
	v_add_u32_e32 v3, s4, v3
	global_load_dwordx2 v[6:7], v[2:3], off
	v_mad_u64_u32 v[2:3], s[10:11], s8, v68, v[2:3]
	v_add_u32_e32 v3, s4, v3
	global_load_dwordx2 v[18:19], v[2:3], off
	v_mad_u64_u32 v[2:3], s[10:11], s8, v68, v[2:3]
	v_lshl_add_u64 v[4:5], s[12:13], 0, v[122:123]
	s_movk_i32 s5, 0x1000
	v_add_u32_e32 v3, s4, v3
	v_add_co_u32_e32 v8, vcc, s5, v4
	global_load_dwordx2 v[30:31], v[2:3], off
	v_mad_u64_u32 v[2:3], s[10:11], s8, v68, v[2:3]
	v_addc_co_u32_e32 v9, vcc, 0, v5, vcc
	v_add_u32_e32 v3, s4, v3
	global_load_dwordx2 v[32:33], v[8:9], off offset:104
	global_load_dwordx2 v[34:35], v[2:3], off
	global_load_dwordx2 v[36:37], v[8:9], off offset:944
	global_load_dwordx2 v[38:39], v[8:9], off offset:1784
	;; [unrolled: 1-line block ×3, first 2 shown]
	v_mad_u64_u32 v[2:3], s[10:11], s8, v68, v[2:3]
	v_add_u32_e32 v3, s4, v3
	global_load_dwordx2 v[42:43], v[2:3], off
	v_mad_u64_u32 v[2:3], s[10:11], s8, v68, v[2:3]
	v_add_u32_e32 v3, s4, v3
	global_load_dwordx2 v[44:45], v[2:3], off
	v_mad_u64_u32 v[2:3], s[10:11], s8, v68, v[2:3]
	s_movk_i32 s5, 0x2000
	v_add_u32_e32 v3, s4, v3
	v_add_co_u32_e32 v46, vcc, s5, v4
	global_load_dwordx2 v[48:49], v[2:3], off
	v_mad_u64_u32 v[2:3], s[10:11], s8, v68, v[2:3]
	v_addc_co_u32_e32 v47, vcc, 0, v5, vcc
	v_add_u32_e32 v3, s4, v3
	global_load_dwordx2 v[8:9], v[8:9], off offset:3464
	s_movk_i32 s5, 0x3000
	global_load_dwordx2 v[50:51], v[46:47], off offset:208
	global_load_dwordx2 v[52:53], v[2:3], off
	global_load_dwordx2 v[54:55], v[46:47], off offset:1048
	global_load_dwordx2 v[56:57], v[46:47], off offset:1888
	v_mad_u64_u32 v[2:3], s[10:11], s8, v68, v[2:3]
	v_add_u32_e32 v3, s4, v3
	global_load_dwordx2 v[58:59], v[2:3], off
	v_mad_u64_u32 v[2:3], s[10:11], s8, v68, v[2:3]
	v_add_u32_e32 v3, s4, v3
	global_load_dwordx2 v[60:61], v[2:3], off
	global_load_dwordx2 v[62:63], v[46:47], off offset:2728
	global_load_dwordx2 v[64:65], v[46:47], off offset:3568
	v_mad_u64_u32 v[2:3], s[10:11], s8, v68, v[2:3]
	v_add_co_u32_e32 v4, vcc, s5, v4
	v_add_u32_e32 v3, s4, v3
	s_nop 0
	v_addc_co_u32_e32 v5, vcc, 0, v5, vcc
	global_load_dwordx2 v[46:47], v[2:3], off
	global_load_dwordx2 v[66:67], v[4:5], off offset:312
	v_mad_u64_u32 v[2:3], s[8:9], s8, v68, v[2:3]
	v_add_u32_e32 v3, s4, v3
	global_load_dwordx2 v[68:69], v[2:3], off
	global_load_dwordx2 v[70:71], v[4:5], off offset:1152
	v_add_u32_e32 v4, 0x400, v122
	s_waitcnt vmcnt(32)
	v_mul_f32_e32 v2, v0, v11
	v_fma_f32 v3, v1, v10, -v2
	v_mul_f32_e32 v2, v1, v11
	v_fmac_f32_e32 v2, v0, v10
	s_waitcnt vmcnt(28)
	v_mul_f32_e32 v0, v21, v13
	v_mul_f32_e32 v1, v20, v13
	v_fmac_f32_e32 v0, v20, v12
	v_fma_f32 v1, v21, v12, -v1
	ds_write2_b64 v122, v[2:3], v[0:1] offset1:105
	s_waitcnt vmcnt(27)
	v_mul_f32_e32 v0, v23, v15
	v_mul_f32_e32 v1, v22, v15
	s_waitcnt vmcnt(26)
	v_mul_f32_e32 v2, v25, v17
	v_mul_f32_e32 v3, v24, v17
	v_fmac_f32_e32 v0, v22, v14
	v_fma_f32 v1, v23, v14, -v1
	v_fmac_f32_e32 v2, v24, v16
	v_fma_f32 v3, v25, v16, -v3
	ds_write2_b64 v4, v[0:1], v[2:3] offset0:82 offset1:187
	s_waitcnt vmcnt(24)
	v_mul_f32_e32 v0, v27, v29
	v_mul_f32_e32 v1, v26, v29
	v_fmac_f32_e32 v0, v26, v28
	v_fma_f32 v1, v27, v28, -v1
	v_add_u32_e32 v4, 0xc00, v122
	s_waitcnt vmcnt(20)
	v_mul_f32_e32 v2, v7, v33
	v_mul_f32_e32 v3, v6, v33
	v_fmac_f32_e32 v2, v6, v32
	v_fma_f32 v3, v7, v32, -v3
	ds_write2_b64 v4, v[0:1], v[2:3] offset0:36 offset1:141
	s_waitcnt vmcnt(18)
	v_mul_f32_e32 v0, v19, v37
	v_mul_f32_e32 v1, v18, v37
	s_waitcnt vmcnt(17)
	v_mul_f32_e32 v2, v31, v39
	v_mul_f32_e32 v3, v30, v39
	v_fmac_f32_e32 v0, v18, v36
	v_fma_f32 v1, v19, v36, -v1
	v_fmac_f32_e32 v2, v30, v38
	v_fma_f32 v3, v31, v38, -v3
	v_add_u32_e32 v4, 0x1000, v122
	ds_write2_b64 v4, v[0:1], v[2:3] offset0:118 offset1:223
	s_waitcnt vmcnt(16)
	v_mul_f32_e32 v0, v35, v41
	v_mul_f32_e32 v1, v34, v41
	v_fmac_f32_e32 v0, v34, v40
	v_fma_f32 v1, v35, v40, -v1
	v_add_u32_e32 v4, 0x1800, v122
	s_waitcnt vmcnt(12)
	v_mul_f32_e32 v2, v43, v9
	v_mul_f32_e32 v3, v42, v9
	v_fmac_f32_e32 v2, v42, v8
	v_fma_f32 v3, v43, v8, -v3
	ds_write2_b64 v4, v[0:1], v[2:3] offset0:72 offset1:177
	s_waitcnt vmcnt(11)
	v_mul_f32_e32 v0, v45, v51
	v_mul_f32_e32 v1, v44, v51
	s_waitcnt vmcnt(9)
	v_mul_f32_e32 v2, v49, v55
	v_mul_f32_e32 v3, v48, v55
	v_fmac_f32_e32 v0, v44, v50
	v_fma_f32 v1, v45, v50, -v1
	v_fmac_f32_e32 v2, v48, v54
	v_fma_f32 v3, v49, v54, -v3
	v_add_u32_e32 v4, 0x2000, v122
	ds_write2_b64 v4, v[0:1], v[2:3] offset0:26 offset1:131
	s_waitcnt vmcnt(8)
	v_mul_f32_e32 v0, v53, v57
	v_mul_f32_e32 v1, v52, v57
	s_waitcnt vmcnt(5)
	v_mul_f32_e32 v2, v59, v63
	v_mul_f32_e32 v3, v58, v63
	v_fmac_f32_e32 v0, v52, v56
	v_fma_f32 v1, v53, v56, -v1
	v_fmac_f32_e32 v2, v58, v62
	v_fma_f32 v3, v59, v62, -v3
	v_add_u32_e32 v4, 0x2400, v122
	;; [unrolled: 12-line block ×3, first 2 shown]
	ds_write2_b64 v4, v[0:1], v[2:3] offset0:62 offset1:167
	s_waitcnt vmcnt(0)
	v_mul_f32_e32 v0, v69, v71
	v_mul_f32_e32 v1, v68, v71
	v_fmac_f32_e32 v0, v68, v70
	v_fma_f32 v1, v69, v70, -v1
	ds_write_b64 v122, v[0:1] offset:13440
.LBB0_3:
	s_or_b64 exec, exec, s[2:3]
	s_load_dwordx2 s[2:3], s[0:1], 0x20
	s_load_dwordx2 s[14:15], s[0:1], 0x8
	v_mov_b64_e32 v[0:1], 0
	s_waitcnt lgkmcnt(0)
	s_barrier
	s_waitcnt lgkmcnt(0)
                                        ; implicit-def: $vgpr6
                                        ; implicit-def: $vgpr12
                                        ; implicit-def: $vgpr10
                                        ; implicit-def: $vgpr20
                                        ; implicit-def: $vgpr18
                                        ; implicit-def: $vgpr28
                                        ; implicit-def: $vgpr26
                                        ; implicit-def: $vgpr56
	s_and_saveexec_b64 s[0:1], s[6:7]
	s_cbranch_execz .LBB0_5
; %bb.4:
	v_add_u32_e32 v4, 0x400, v122
	ds_read2_b64 v[24:27], v4 offset0:82 offset1:187
	v_add_u32_e32 v4, 0xc00, v122
	ds_read2_b64 v[16:19], v4 offset0:36 offset1:141
	;; [unrolled: 2-line block ×3, first 2 shown]
	v_add_u32_e32 v4, 0x1800, v122
	v_add_u32_e32 v12, 0x2000, v122
	;; [unrolled: 1-line block ×4, first 2 shown]
	ds_read2_b64 v[0:3], v122 offset1:105
	ds_read2_b64 v[4:7], v4 offset0:72 offset1:177
	ds_read2_b64 v[12:15], v12 offset0:26 offset1:131
	;; [unrolled: 1-line block ×4, first 2 shown]
	ds_read_b64 v[56:57], v122 offset:13440
.LBB0_5:
	s_or_b64 exec, exec, s[0:1]
	s_waitcnt lgkmcnt(0)
	v_pk_add_f32 v[50:51], v[2:3], v[56:57] neg_lo:[0,1] neg_hi:[0,1]
	s_mov_b32 s36, 0xbf2c7751
	v_pk_add_f32 v[46:47], v[56:57], v[2:3]
	v_pk_add_f32 v[48:49], v[24:25], v[30:31] neg_lo:[0,1] neg_hi:[0,1]
	s_mov_b32 s8, 0x3f3d2fb0
	v_pk_mul_f32 v[52:53], v[50:51], s[36:37] op_sel_hi:[1,0]
	s_mov_b32 s30, 0xbf7ee86f
	v_pk_add_f32 v[44:45], v[30:31], v[24:25]
	v_pk_fma_f32 v[66:67], v[46:47], s[8:9], v[52:53] op_sel:[0,0,1] op_sel_hi:[1,0,0]
	v_pk_fma_f32 v[68:69], v[46:47], s[8:9], v[52:53] op_sel:[0,0,1] op_sel_hi:[1,0,0] neg_lo:[0,0,1] neg_hi:[0,0,1]
	s_mov_b32 s4, 0x3dbcf732
	v_pk_mul_f32 v[54:55], v[48:49], s[30:31] op_sel_hi:[1,0]
	v_mov_b32_e32 v52, v66
	v_mov_b32_e32 v53, v69
	v_pk_fma_f32 v[70:71], v[44:45], s[4:5], v[54:55] op_sel:[0,0,1] op_sel_hi:[1,0,0]
	v_pk_fma_f32 v[72:73], v[44:45], s[4:5], v[54:55] op_sel:[0,0,1] op_sel_hi:[1,0,0] neg_lo:[0,0,1] neg_hi:[0,0,1]
	v_pk_add_f32 v[42:43], v[26:27], v[28:29] neg_lo:[0,1] neg_hi:[0,1]
	v_pk_add_f32 v[52:53], v[52:53], v[0:1]
	v_mov_b32_e32 v54, v70
	v_mov_b32_e32 v55, v73
	s_mov_b32 s18, 0xbf4c4adb
	v_pk_add_f32 v[40:41], v[28:29], v[26:27]
	v_pk_add_f32 v[52:53], v[54:55], v[52:53]
	s_mov_b32 s10, 0xbf1a4643
	v_pk_mul_f32 v[54:55], v[42:43], s[18:19] op_sel_hi:[1,0]
	v_pk_add_f32 v[38:39], v[16:17], v[22:23] neg_lo:[0,1] neg_hi:[0,1]
	v_pk_fma_f32 v[74:75], v[40:41], s[10:11], v[54:55] op_sel:[0,0,1] op_sel_hi:[1,0,0]
	v_pk_fma_f32 v[76:77], v[40:41], s[10:11], v[54:55] op_sel:[0,0,1] op_sel_hi:[1,0,0] neg_lo:[0,0,1] neg_hi:[0,0,1]
	v_mov_b32_e32 v54, v74
	v_mov_b32_e32 v55, v77
	s_mov_b32 s26, 0xbe3c28d5
	v_pk_add_f32 v[36:37], v[22:23], v[16:17]
	v_pk_add_f32 v[52:53], v[54:55], v[52:53]
	s_mov_b32 s24, 0xbf7ba420
	v_pk_mul_f32 v[54:55], v[38:39], s[26:27] op_sel_hi:[1,0]
	v_pk_add_f32 v[34:35], v[18:19], v[20:21] neg_lo:[0,1] neg_hi:[0,1]
	v_pk_fma_f32 v[78:79], v[36:37], s[24:25], v[54:55] op_sel:[0,0,1] op_sel_hi:[1,0,0]
	v_pk_fma_f32 v[80:81], v[36:37], s[24:25], v[54:55] op_sel:[0,0,1] op_sel_hi:[1,0,0] neg_lo:[0,0,1] neg_hi:[0,0,1]
	v_mov_b32_e32 v54, v78
	v_mov_b32_e32 v55, v81
	s_mov_b32 s50, 0x3f06c442
	v_pk_add_f32 v[32:33], v[20:21], v[18:19]
	v_pk_add_f32 v[52:53], v[54:55], v[52:53]
	s_mov_b32 s22, 0xbf59a7d5
	v_pk_mul_f32 v[54:55], v[34:35], s[50:51] op_sel_hi:[1,0]
	s_mov_b32 s46, 0x3f763a35
	v_pk_fma_f32 v[84:85], v[32:33], s[22:23], v[54:55] op_sel:[0,0,1] op_sel_hi:[1,0,0]
	v_pk_fma_f32 v[86:87], v[32:33], s[22:23], v[54:55] op_sel:[0,0,1] op_sel_hi:[1,0,0] neg_lo:[0,0,1] neg_hi:[0,0,1]
	v_mov_b32_e32 v54, v84
	v_mov_b32_e32 v55, v87
	v_pk_add_f32 v[58:59], v[54:55], v[52:53]
	v_pk_add_f32 v[54:55], v[8:9], v[14:15] neg_lo:[0,1] neg_hi:[0,1]
	s_mov_b32 s20, 0xbe8c1d8e
	v_pk_add_f32 v[52:53], v[14:15], v[8:9]
	v_pk_mul_f32 v[60:61], v[54:55], s[46:47] op_sel_hi:[1,0]
	s_mov_b32 s40, 0xbeb8f4ab
	v_pk_fma_f32 v[88:89], v[52:53], s[20:21], v[60:61] op_sel:[0,0,1] op_sel_hi:[1,0,0]
	v_pk_fma_f32 v[92:93], v[52:53], s[20:21], v[60:61] op_sel:[0,0,1] op_sel_hi:[1,0,0] neg_lo:[0,0,1] neg_hi:[0,0,1]
	v_mov_b32_e32 v60, v88
	v_mov_b32_e32 v61, v93
	v_pk_add_f32 v[62:63], v[60:61], v[58:59]
	s_mov_b32 s28, 0x3f6eb680
	v_pk_mul_f32 v[58:59], v[50:51], s[40:41] op_sel_hi:[1,0]
	v_pk_mul_f32 v[60:61], v[48:49], s[36:37] op_sel_hi:[1,0]
	v_pk_fma_f32 v[94:95], v[46:47], s[28:29], v[58:59] op_sel:[0,0,1] op_sel_hi:[1,0,0]
	v_pk_fma_f32 v[96:97], v[46:47], s[28:29], v[58:59] op_sel:[0,0,1] op_sel_hi:[1,0,0] neg_lo:[0,0,1] neg_hi:[0,0,1]
	v_mov_b32_e32 v58, v94
	v_mov_b32_e32 v59, v97
	v_pk_fma_f32 v[98:99], v[44:45], s[8:9], v[60:61] op_sel:[0,0,1] op_sel_hi:[1,0,0]
	v_pk_fma_f32 v[100:101], v[44:45], s[8:9], v[60:61] op_sel:[0,0,1] op_sel_hi:[1,0,0] neg_lo:[0,0,1] neg_hi:[0,0,1]
	v_mov_b32_e32 v60, v98
	v_mov_b32_e32 v61, v101
	v_pk_add_f32 v[58:59], v[58:59], v[0:1]
	s_mov_b32 s54, 0xbf65296c
	v_pk_add_f32 v[58:59], v[60:61], v[58:59]
	s_mov_b32 s34, 0x3ee437d1
	v_pk_mul_f32 v[60:61], v[42:43], s[54:55] op_sel_hi:[1,0]
	s_mov_b32 s38, 0xbf763a35
	v_pk_fma_f32 v[106:107], v[40:41], s[34:35], v[60:61] op_sel:[0,0,1] op_sel_hi:[1,0,0]
	v_pk_fma_f32 v[108:109], v[40:41], s[34:35], v[60:61] op_sel:[0,0,1] op_sel_hi:[1,0,0] neg_lo:[0,0,1] neg_hi:[0,0,1]
	v_mov_b32_e32 v60, v106
	v_mov_b32_e32 v61, v109
	v_pk_add_f32 v[58:59], v[60:61], v[58:59]
	v_pk_mul_f32 v[60:61], v[38:39], s[30:31] op_sel_hi:[1,0]
	s_mov_b32 s44, 0xbf06c442
	v_pk_fma_f32 v[110:111], v[36:37], s[4:5], v[60:61] op_sel:[0,0,1] op_sel_hi:[1,0,0]
	v_pk_fma_f32 v[112:113], v[36:37], s[4:5], v[60:61] op_sel:[0,0,1] op_sel_hi:[1,0,0] neg_lo:[0,0,1] neg_hi:[0,0,1]
	v_mov_b32_e32 v60, v110
	v_mov_b32_e32 v61, v113
	v_pk_add_f32 v[58:59], v[60:61], v[58:59]
	v_pk_mul_f32 v[60:61], v[34:35], s[38:39] op_sel_hi:[1,0]
	s_mov_b32 s42, 0x3f65296c
	v_pk_fma_f32 v[118:119], v[32:33], s[20:21], v[60:61] op_sel:[0,0,1] op_sel_hi:[1,0,0]
	v_pk_fma_f32 v[120:121], v[32:33], s[20:21], v[60:61] op_sel:[0,0,1] op_sel_hi:[1,0,0] neg_lo:[0,0,1] neg_hi:[0,0,1]
	v_mov_b32_e32 v60, v118
	v_mov_b32_e32 v61, v121
	v_pk_add_f32 v[58:59], v[60:61], v[58:59]
	v_pk_mul_f32 v[60:61], v[54:55], s[18:19] op_sel_hi:[1,0]
	s_mov_b32 s48, 0x3eb8f4ab
	v_pk_fma_f32 v[124:125], v[52:53], s[10:11], v[60:61] op_sel:[0,0,1] op_sel_hi:[1,0,0]
	v_pk_fma_f32 v[126:127], v[52:53], s[10:11], v[60:61] op_sel:[0,0,1] op_sel_hi:[1,0,0] neg_lo:[0,0,1] neg_hi:[0,0,1]
	v_mov_b32_e32 v60, v124
	v_mov_b32_e32 v61, v127
	v_pk_add_f32 v[64:65], v[60:61], v[58:59]
	v_pk_add_f32 v[60:61], v[10:11], v[12:13] neg_lo:[0,1] neg_hi:[0,1]
	v_pk_add_f32 v[58:59], v[12:13], v[10:11]
	v_pk_mul_f32 v[82:83], v[60:61], s[44:45] op_sel_hi:[1,0]
	v_mul_lo_u16_e32 v66, 17, v196
	v_pk_fma_f32 v[128:129], v[58:59], s[22:23], v[82:83] op_sel:[0,0,1] op_sel_hi:[1,0,0]
	v_pk_fma_f32 v[130:131], v[58:59], s[22:23], v[82:83] op_sel:[0,0,1] op_sel_hi:[1,0,0] neg_lo:[0,0,1] neg_hi:[0,0,1]
	v_mov_b32_e32 v82, v128
	v_mov_b32_e32 v83, v131
	v_pk_add_f32 v[82:83], v[82:83], v[64:65]
	v_pk_mul_f32 v[64:65], v[60:61], s[42:43] op_sel_hi:[1,0]
	v_accvgpr_write_b32 a20, v66
	v_pk_fma_f32 v[102:103], v[58:59], s[34:35], v[64:65] op_sel:[0,0,1] op_sel_hi:[1,0,0]
	v_pk_fma_f32 v[104:105], v[58:59], s[34:35], v[64:65] op_sel:[0,0,1] op_sel_hi:[1,0,0] neg_lo:[0,0,1] neg_hi:[0,0,1]
	v_mov_b32_e32 v64, v102
	v_mov_b32_e32 v65, v105
	v_pk_add_f32 v[136:137], v[64:65], v[62:63]
	v_pk_add_f32 v[64:65], v[4:5], v[6:7] neg_lo:[0,1] neg_hi:[0,1]
	v_pk_add_f32 v[62:63], v[6:7], v[4:5]
	v_pk_mul_f32 v[90:91], v[64:65], s[26:27] op_sel_hi:[1,0]
	s_nop 0
	v_pk_fma_f32 v[132:133], v[62:63], s[24:25], v[90:91] op_sel:[0,0,1] op_sel_hi:[1,0,0]
	v_pk_fma_f32 v[134:135], v[62:63], s[24:25], v[90:91] op_sel:[0,0,1] op_sel_hi:[1,0,0] neg_lo:[0,0,1] neg_hi:[0,0,1]
	v_mov_b32_e32 v90, v132
	v_mov_b32_e32 v91, v135
	v_pk_add_f32 v[90:91], v[90:91], v[82:83]
	v_pk_mul_f32 v[82:83], v[64:65], s[48:49] op_sel_hi:[1,0]
	s_barrier
	v_pk_fma_f32 v[114:115], v[62:63], s[28:29], v[82:83] op_sel:[0,0,1] op_sel_hi:[1,0,0]
	v_pk_fma_f32 v[116:117], v[62:63], s[28:29], v[82:83] op_sel:[0,0,1] op_sel_hi:[1,0,0] neg_lo:[0,0,1] neg_hi:[0,0,1]
	v_mov_b32_e32 v82, v114
	v_mov_b32_e32 v83, v117
	v_pk_add_f32 v[82:83], v[82:83], v[136:137]
	s_and_saveexec_b64 s[0:1], s[6:7]
	s_cbranch_execz .LBB0_7
; %bb.6:
	v_pk_add_f32 v[2:3], v[2:3], v[0:1]
	v_mov_b32_e32 v97, v95
	v_pk_add_f32 v[2:3], v[24:25], v[2:3]
	v_mov_b32_e32 v101, v99
	;; [unrolled: 2-line block ×7, first 2 shown]
	v_pk_add_f32 v[2:3], v[4:5], v[2:3]
	v_accvgpr_read_b32 v4, a20
	v_pk_add_f32 v[2:3], v[6:7], v[2:3]
	v_lshlrev_b32_e32 v123, 3, v4
	v_pk_add_f32 v[4:5], v[96:97], v[0:1]
	v_pk_add_f32 v[2:3], v[12:13], v[2:3]
	v_pk_add_f32 v[4:5], v[100:101], v[4:5]
	v_pk_add_f32 v[2:3], v[14:15], v[2:3]
	v_pk_add_f32 v[4:5], v[108:109], v[4:5]
	v_pk_add_f32 v[2:3], v[20:21], v[2:3]
	v_pk_add_f32 v[4:5], v[112:113], v[4:5]
	v_pk_add_f32 v[2:3], v[22:23], v[2:3]
	v_pk_add_f32 v[4:5], v[120:121], v[4:5]
	v_pk_add_f32 v[2:3], v[28:29], v[2:3]
	v_pk_add_f32 v[4:5], v[126:127], v[4:5]
	v_pk_add_f32 v[2:3], v[30:31], v[2:3]
	v_pk_add_f32 v[4:5], v[130:131], v[4:5]
	v_mov_b32_e32 v135, v133
	v_pk_add_f32 v[2:3], v[56:57], v[2:3]
	v_pk_add_f32 v[4:5], v[134:135], v[4:5]
	v_mov_b32_e32 v69, v67
	ds_write2_b64 v123, v[2:3], v[4:5] offset1:1
	v_pk_add_f32 v[2:3], v[68:69], v[0:1]
	v_mov_b32_e32 v73, v71
	v_pk_add_f32 v[2:3], v[72:73], v[2:3]
	v_mov_b32_e32 v77, v75
	;; [unrolled: 2-line block ×7, first 2 shown]
	v_pk_mul_f32 v[4:5], v[50:51], s[54:55] op_sel_hi:[1,0]
	v_pk_add_f32 v[66:67], v[116:117], v[2:3]
	v_pk_fma_f32 v[2:3], v[46:47], s[34:35], v[4:5] op_sel:[0,0,1] op_sel_hi:[1,0,0] neg_lo:[0,0,1] neg_hi:[0,0,1]
	v_pk_fma_f32 v[4:5], v[46:47], s[34:35], v[4:5] op_sel:[0,0,1] op_sel_hi:[1,0,0]
	v_pk_mul_f32 v[8:9], v[48:49], s[18:19] op_sel_hi:[1,0]
	v_mov_b32_e32 v6, v2
	v_mov_b32_e32 v7, v5
	s_mov_b32 s52, 0x3e3c28d5
	v_pk_add_f32 v[10:11], v[6:7], v[0:1]
	v_pk_fma_f32 v[6:7], v[44:45], s[10:11], v[8:9] op_sel:[0,0,1] op_sel_hi:[1,0,0] neg_lo:[0,0,1] neg_hi:[0,0,1]
	v_pk_fma_f32 v[8:9], v[44:45], s[10:11], v[8:9] op_sel:[0,0,1] op_sel_hi:[1,0,0]
	v_pk_mul_f32 v[12:13], v[42:43], s[52:53] op_sel_hi:[1,0]
	v_mov_b32_e32 v14, v6
	v_mov_b32_e32 v15, v9
	v_pk_add_f32 v[14:15], v[14:15], v[10:11]
	v_pk_fma_f32 v[10:11], v[40:41], s[24:25], v[12:13] op_sel:[0,0,1] op_sel_hi:[1,0,0] neg_lo:[0,0,1] neg_hi:[0,0,1]
	v_pk_fma_f32 v[12:13], v[40:41], s[24:25], v[12:13] op_sel:[0,0,1] op_sel_hi:[1,0,0]
	v_pk_mul_f32 v[16:17], v[38:39], s[46:47] op_sel_hi:[1,0]
	v_mov_b32_e32 v18, v10
	v_mov_b32_e32 v19, v13
	s_mov_b32 s52, 0x3f2c7751
	v_pk_add_f32 v[18:19], v[18:19], v[14:15]
	v_pk_fma_f32 v[14:15], v[36:37], s[20:21], v[16:17] op_sel:[0,0,1] op_sel_hi:[1,0,0] neg_lo:[0,0,1] neg_hi:[0,0,1]
	v_pk_fma_f32 v[16:17], v[36:37], s[20:21], v[16:17] op_sel:[0,0,1] op_sel_hi:[1,0,0]
	v_pk_mul_f32 v[20:21], v[34:35], s[52:53] op_sel_hi:[1,0]
	v_mov_b32_e32 v22, v14
	v_mov_b32_e32 v23, v17
	v_pk_add_f32 v[22:23], v[22:23], v[18:19]
	v_pk_fma_f32 v[18:19], v[32:33], s[8:9], v[20:21] op_sel:[0,0,1] op_sel_hi:[1,0,0] neg_lo:[0,0,1] neg_hi:[0,0,1]
	v_pk_fma_f32 v[20:21], v[32:33], s[8:9], v[20:21] op_sel:[0,0,1] op_sel_hi:[1,0,0]
	v_pk_mul_f32 v[24:25], v[54:55], s[40:41] op_sel_hi:[1,0]
	v_mov_b32_e32 v26, v18
	v_mov_b32_e32 v27, v21
	;; [unrolled: 6-line block ×4, first 2 shown]
	v_pk_add_f32 v[68:69], v[68:69], v[30:31]
	v_pk_fma_f32 v[30:31], v[62:63], s[22:23], v[56:57] op_sel:[0,0,1] op_sel_hi:[1,0,0] neg_lo:[0,0,1] neg_hi:[0,0,1]
	v_pk_fma_f32 v[56:57], v[62:63], s[22:23], v[56:57] op_sel:[0,0,1] op_sel_hi:[1,0,0]
	v_mov_b32_e32 v70, v30
	v_mov_b32_e32 v71, v57
	v_pk_add_f32 v[68:69], v[70:71], v[68:69]
	ds_write2_b64 v123, v[66:67], v[68:69] offset0:2 offset1:3
	v_pk_mul_f32 v[68:69], v[50:51], s[30:31] op_sel_hi:[1,0]
	v_pk_mul_f32 v[72:73], v[48:49], s[26:27] op_sel_hi:[1,0]
	v_pk_fma_f32 v[66:67], v[46:47], s[4:5], v[68:69] op_sel:[0,0,1] op_sel_hi:[1,0,0] neg_lo:[0,0,1] neg_hi:[0,0,1]
	v_pk_fma_f32 v[68:69], v[46:47], s[4:5], v[68:69] op_sel:[0,0,1] op_sel_hi:[1,0,0]
	v_mov_b32_e32 v70, v66
	v_mov_b32_e32 v71, v69
	v_pk_add_f32 v[74:75], v[70:71], v[0:1]
	v_pk_fma_f32 v[70:71], v[44:45], s[24:25], v[72:73] op_sel:[0,0,1] op_sel_hi:[1,0,0] neg_lo:[0,0,1] neg_hi:[0,0,1]
	v_pk_fma_f32 v[72:73], v[44:45], s[24:25], v[72:73] op_sel:[0,0,1] op_sel_hi:[1,0,0]
	v_mov_b32_e32 v76, v70
	v_mov_b32_e32 v77, v73
	v_pk_add_f32 v[78:79], v[76:77], v[74:75]
	v_pk_mul_f32 v[76:77], v[42:43], s[46:47] op_sel_hi:[1,0]
	s_mov_b32 s56, 0x3f4c4adb
	v_pk_fma_f32 v[74:75], v[40:41], s[20:21], v[76:77] op_sel:[0,0,1] op_sel_hi:[1,0,0] neg_lo:[0,0,1] neg_hi:[0,0,1]
	v_pk_fma_f32 v[76:77], v[40:41], s[20:21], v[76:77] op_sel:[0,0,1] op_sel_hi:[1,0,0]
	v_mov_b32_e32 v80, v74
	v_mov_b32_e32 v81, v77
	v_pk_add_f32 v[84:85], v[80:81], v[78:79]
	v_pk_mul_f32 v[80:81], v[38:39], s[48:49] op_sel_hi:[1,0]
	v_pk_mul_f32 v[108:109], v[48:49], s[50:51] op_sel_hi:[1,0]
	v_pk_fma_f32 v[78:79], v[36:37], s[28:29], v[80:81] op_sel:[0,0,1] op_sel_hi:[1,0,0] neg_lo:[0,0,1] neg_hi:[0,0,1]
	v_pk_fma_f32 v[80:81], v[36:37], s[28:29], v[80:81] op_sel:[0,0,1] op_sel_hi:[1,0,0]
	v_mov_b32_e32 v86, v78
	v_mov_b32_e32 v87, v81
	v_pk_add_f32 v[88:89], v[86:87], v[84:85]
	v_pk_mul_f32 v[86:87], v[34:35], s[54:55] op_sel_hi:[1,0]
	s_mov_b32 s50, 0x3f7ee86f
	v_pk_fma_f32 v[84:85], v[32:33], s[34:35], v[86:87] op_sel:[0,0,1] op_sel_hi:[1,0,0] neg_lo:[0,0,1] neg_hi:[0,0,1]
	v_pk_fma_f32 v[86:87], v[32:33], s[34:35], v[86:87] op_sel:[0,0,1] op_sel_hi:[1,0,0]
	v_mov_b32_e32 v92, v84
	v_mov_b32_e32 v93, v87
	v_pk_add_f32 v[94:95], v[92:93], v[88:89]
	v_pk_mul_f32 v[92:93], v[54:55], s[44:45] op_sel_hi:[1,0]
	v_pk_mul_f32 v[142:143], v[48:49], s[46:47] op_sel_hi:[1,0]
	v_pk_fma_f32 v[88:89], v[52:53], s[22:23], v[92:93] op_sel:[0,0,1] op_sel_hi:[1,0,0] neg_lo:[0,0,1] neg_hi:[0,0,1]
	v_pk_fma_f32 v[92:93], v[52:53], s[22:23], v[92:93] op_sel:[0,0,1] op_sel_hi:[1,0,0]
	v_mov_b32_e32 v96, v88
	v_mov_b32_e32 v97, v93
	v_pk_add_f32 v[98:99], v[96:97], v[94:95]
	v_pk_mul_f32 v[96:97], v[60:61], s[56:57] op_sel_hi:[1,0]
	v_pk_fma_f32 v[144:145], v[44:45], s[20:21], v[142:143] op_sel:[0,0,1] op_sel_hi:[1,0,0] neg_lo:[0,0,1] neg_hi:[0,0,1]
	v_pk_fma_f32 v[94:95], v[58:59], s[10:11], v[96:97] op_sel:[0,0,1] op_sel_hi:[1,0,0] neg_lo:[0,0,1] neg_hi:[0,0,1]
	v_pk_fma_f32 v[96:97], v[58:59], s[10:11], v[96:97] op_sel:[0,0,1] op_sel_hi:[1,0,0]
	v_mov_b32_e32 v100, v94
	v_mov_b32_e32 v101, v97
	v_pk_add_f32 v[102:103], v[100:101], v[98:99]
	v_pk_mul_f32 v[100:101], v[64:65], s[52:53] op_sel_hi:[1,0]
	v_pk_fma_f32 v[142:143], v[44:45], s[20:21], v[142:143] op_sel:[0,0,1] op_sel_hi:[1,0,0]
	v_pk_fma_f32 v[98:99], v[62:63], s[8:9], v[100:101] op_sel:[0,0,1] op_sel_hi:[1,0,0] neg_lo:[0,0,1] neg_hi:[0,0,1]
	v_pk_fma_f32 v[100:101], v[62:63], s[8:9], v[100:101] op_sel:[0,0,1] op_sel_hi:[1,0,0]
	v_mov_b32_e32 v104, v98
	v_mov_b32_e32 v105, v101
	v_pk_add_f32 v[124:125], v[104:105], v[102:103]
	v_pk_mul_f32 v[104:105], v[50:51], s[38:39] op_sel_hi:[1,0]
	v_mov_b32_e32 v146, v144
	v_pk_fma_f32 v[102:103], v[46:47], s[20:21], v[104:105] op_sel:[0,0,1] op_sel_hi:[1,0,0] neg_lo:[0,0,1] neg_hi:[0,0,1]
	v_pk_fma_f32 v[104:105], v[46:47], s[20:21], v[104:105] op_sel:[0,0,1] op_sel_hi:[1,0,0]
	v_mov_b32_e32 v106, v102
	v_mov_b32_e32 v107, v105
	v_pk_add_f32 v[110:111], v[106:107], v[0:1]
	v_pk_fma_f32 v[106:107], v[44:45], s[22:23], v[108:109] op_sel:[0,0,1] op_sel_hi:[1,0,0] neg_lo:[0,0,1] neg_hi:[0,0,1]
	v_pk_fma_f32 v[108:109], v[44:45], s[22:23], v[108:109] op_sel:[0,0,1] op_sel_hi:[1,0,0]
	v_mov_b32_e32 v112, v106
	v_mov_b32_e32 v113, v109
	v_pk_add_f32 v[114:115], v[112:113], v[110:111]
	v_pk_mul_f32 v[112:113], v[42:43], s[52:53] op_sel_hi:[1,0]
	v_mov_b32_e32 v147, v143
	v_pk_fma_f32 v[110:111], v[40:41], s[8:9], v[112:113] op_sel:[0,0,1] op_sel_hi:[1,0,0] neg_lo:[0,0,1] neg_hi:[0,0,1]
	v_pk_fma_f32 v[112:113], v[40:41], s[8:9], v[112:113] op_sel:[0,0,1] op_sel_hi:[1,0,0]
	v_mov_b32_e32 v116, v110
	v_mov_b32_e32 v117, v113
	v_pk_add_f32 v[118:119], v[116:117], v[114:115]
	v_pk_mul_f32 v[116:117], v[38:39], s[54:55] op_sel_hi:[1,0]
	v_pk_mul_f32 v[176:177], v[48:49], s[42:43] op_sel_hi:[1,0]
	v_pk_fma_f32 v[114:115], v[36:37], s[34:35], v[116:117] op_sel:[0,0,1] op_sel_hi:[1,0,0] neg_lo:[0,0,1] neg_hi:[0,0,1]
	v_pk_fma_f32 v[116:117], v[36:37], s[34:35], v[116:117] op_sel:[0,0,1] op_sel_hi:[1,0,0]
	v_mov_b32_e32 v120, v114
	v_mov_b32_e32 v121, v117
	v_pk_add_f32 v[126:127], v[120:121], v[118:119]
	v_pk_mul_f32 v[120:121], v[34:35], s[26:27] op_sel_hi:[1,0]
	v_pk_fma_f32 v[178:179], v[44:45], s[34:35], v[176:177] op_sel:[0,0,1] op_sel_hi:[1,0,0] neg_lo:[0,0,1] neg_hi:[0,0,1]
	v_pk_fma_f32 v[118:119], v[32:33], s[24:25], v[120:121] op_sel:[0,0,1] op_sel_hi:[1,0,0] neg_lo:[0,0,1] neg_hi:[0,0,1]
	v_pk_fma_f32 v[120:121], v[32:33], s[24:25], v[120:121] op_sel:[0,0,1] op_sel_hi:[1,0,0]
	v_mov_b32_e32 v128, v118
	v_mov_b32_e32 v129, v121
	v_pk_add_f32 v[130:131], v[128:129], v[126:127]
	v_pk_mul_f32 v[128:129], v[54:55], s[50:51] op_sel_hi:[1,0]
	v_pk_fma_f32 v[176:177], v[44:45], s[34:35], v[176:177] op_sel:[0,0,1] op_sel_hi:[1,0,0]
	v_pk_fma_f32 v[126:127], v[52:53], s[4:5], v[128:129] op_sel:[0,0,1] op_sel_hi:[1,0,0] neg_lo:[0,0,1] neg_hi:[0,0,1]
	v_pk_fma_f32 v[128:129], v[52:53], s[4:5], v[128:129] op_sel:[0,0,1] op_sel_hi:[1,0,0]
	v_mov_b32_e32 v132, v126
	v_mov_b32_e32 v133, v129
	v_pk_add_f32 v[134:135], v[132:133], v[130:131]
	v_pk_mul_f32 v[132:133], v[60:61], s[40:41] op_sel_hi:[1,0]
	v_mov_b32_e32 v180, v178
	v_pk_fma_f32 v[130:131], v[58:59], s[28:29], v[132:133] op_sel:[0,0,1] op_sel_hi:[1,0,0] neg_lo:[0,0,1] neg_hi:[0,0,1]
	v_pk_fma_f32 v[132:133], v[58:59], s[28:29], v[132:133] op_sel:[0,0,1] op_sel_hi:[1,0,0]
	v_mov_b32_e32 v136, v130
	v_mov_b32_e32 v137, v133
	v_pk_add_f32 v[138:139], v[136:137], v[134:135]
	v_pk_mul_f32 v[136:137], v[64:65], s[18:19] op_sel_hi:[1,0]
	v_mov_b32_e32 v181, v177
	v_pk_fma_f32 v[134:135], v[62:63], s[10:11], v[136:137] op_sel:[0,0,1] op_sel_hi:[1,0,0] neg_lo:[0,0,1] neg_hi:[0,0,1]
	v_pk_fma_f32 v[136:137], v[62:63], s[10:11], v[136:137] op_sel:[0,0,1] op_sel_hi:[1,0,0]
	v_mov_b32_e32 v140, v134
	v_mov_b32_e32 v141, v137
	v_pk_add_f32 v[138:139], v[140:141], v[138:139]
	ds_write2_b64 v123, v[124:125], v[138:139] offset0:4 offset1:5
	v_pk_mul_f32 v[124:125], v[50:51], s[18:19] op_sel_hi:[1,0]
	v_mov_b64_e32 v[206:207], v[196:197]
	v_pk_fma_f32 v[138:139], v[46:47], s[10:11], v[124:125] op_sel:[0,0,1] op_sel_hi:[1,0,0] neg_lo:[0,0,1] neg_hi:[0,0,1]
	v_pk_fma_f32 v[124:125], v[46:47], s[10:11], v[124:125] op_sel:[0,0,1] op_sel_hi:[1,0,0]
	v_mov_b32_e32 v140, v138
	v_mov_b32_e32 v141, v125
	v_pk_add_f32 v[140:141], v[140:141], v[0:1]
	v_pk_mul_f32 v[48:49], v[48:49], s[48:49] op_sel_hi:[1,0]
	v_pk_add_f32 v[140:141], v[146:147], v[140:141]
	v_pk_mul_f32 v[146:147], v[42:43], s[40:41] op_sel_hi:[1,0]
	v_mov_b32_e32 v125, v139
	v_pk_fma_f32 v[148:149], v[40:41], s[28:29], v[146:147] op_sel:[0,0,1] op_sel_hi:[1,0,0] neg_lo:[0,0,1] neg_hi:[0,0,1]
	v_pk_fma_f32 v[146:147], v[40:41], s[28:29], v[146:147] op_sel:[0,0,1] op_sel_hi:[1,0,0]
	v_mov_b32_e32 v150, v148
	v_mov_b32_e32 v151, v147
	v_pk_add_f32 v[140:141], v[150:151], v[140:141]
	v_pk_mul_f32 v[150:151], v[38:39], s[44:45] op_sel_hi:[1,0]
	v_mov_b32_e32 v177, v179
	v_pk_fma_f32 v[152:153], v[36:37], s[22:23], v[150:151] op_sel:[0,0,1] op_sel_hi:[1,0,0] neg_lo:[0,0,1] neg_hi:[0,0,1]
	v_pk_fma_f32 v[150:151], v[36:37], s[22:23], v[150:151] op_sel:[0,0,1] op_sel_hi:[1,0,0]
	v_mov_b32_e32 v154, v152
	v_mov_b32_e32 v155, v151
	;; [unrolled: 7-line block ×6, first 2 shown]
	v_pk_add_f32 v[140:141], v[170:171], v[140:141]
	v_pk_mul_f32 v[170:171], v[50:51], s[44:45] op_sel_hi:[1,0]
	v_pk_mul_f32 v[50:51], v[50:51], s[26:27] op_sel_hi:[1,0]
	v_pk_fma_f32 v[172:173], v[46:47], s[22:23], v[170:171] op_sel:[0,0,1] op_sel_hi:[1,0,0] neg_lo:[0,0,1] neg_hi:[0,0,1]
	v_pk_fma_f32 v[170:171], v[46:47], s[22:23], v[170:171] op_sel:[0,0,1] op_sel_hi:[1,0,0]
	v_mov_b32_e32 v174, v172
	v_mov_b32_e32 v175, v171
	v_pk_add_f32 v[174:175], v[174:175], v[0:1]
	v_mov_b32_e32 v171, v173
	v_pk_add_f32 v[174:175], v[180:181], v[174:175]
	v_pk_mul_f32 v[180:181], v[42:43], s[30:31] op_sel_hi:[1,0]
	v_pk_mul_f32 v[42:43], v[42:43], s[44:45] op_sel_hi:[1,0]
	v_pk_fma_f32 v[182:183], v[40:41], s[4:5], v[180:181] op_sel:[0,0,1] op_sel_hi:[1,0,0] neg_lo:[0,0,1] neg_hi:[0,0,1]
	v_pk_fma_f32 v[180:181], v[40:41], s[4:5], v[180:181] op_sel:[0,0,1] op_sel_hi:[1,0,0]
	v_mov_b32_e32 v184, v182
	v_mov_b32_e32 v185, v181
	v_pk_add_f32 v[174:175], v[184:185], v[174:175]
	v_pk_mul_f32 v[184:185], v[38:39], s[56:57] op_sel_hi:[1,0]
	v_pk_mul_f32 v[38:39], v[38:39], s[52:53] op_sel_hi:[1,0]
	v_pk_fma_f32 v[186:187], v[36:37], s[10:11], v[184:185] op_sel:[0,0,1] op_sel_hi:[1,0,0] neg_lo:[0,0,1] neg_hi:[0,0,1]
	v_pk_fma_f32 v[184:185], v[36:37], s[10:11], v[184:185] op_sel:[0,0,1] op_sel_hi:[1,0,0]
	v_mov_b32_e32 v188, v186
	;; [unrolled: 7-line block ×3, first 2 shown]
	v_mov_b32_e32 v193, v189
	v_pk_add_f32 v[174:175], v[192:193], v[174:175]
	v_pk_mul_f32 v[192:193], v[54:55], s[26:27] op_sel_hi:[1,0]
	v_mov_b32_e32 v181, v183
	v_pk_fma_f32 v[194:195], v[52:53], s[24:25], v[192:193] op_sel:[0,0,1] op_sel_hi:[1,0,0] neg_lo:[0,0,1] neg_hi:[0,0,1]
	v_pk_fma_f32 v[192:193], v[52:53], s[24:25], v[192:193] op_sel:[0,0,1] op_sel_hi:[1,0,0]
	v_mov_b32_e32 v196, v194
	v_mov_b32_e32 v197, v193
	v_pk_add_f32 v[174:175], v[196:197], v[174:175]
	v_pk_mul_f32 v[196:197], v[60:61], s[52:53] op_sel_hi:[1,0]
	v_mov_b32_e32 v185, v187
	v_pk_fma_f32 v[198:199], v[58:59], s[8:9], v[196:197] op_sel:[0,0,1] op_sel_hi:[1,0,0] neg_lo:[0,0,1] neg_hi:[0,0,1]
	v_pk_fma_f32 v[196:197], v[58:59], s[8:9], v[196:197] op_sel:[0,0,1] op_sel_hi:[1,0,0]
	v_mov_b32_e32 v200, v198
	;; [unrolled: 7-line block ×3, first 2 shown]
	v_mov_b32_e32 v205, v201
	v_pk_add_f32 v[174:175], v[204:205], v[174:175]
	ds_write2_b64 v123, v[140:141], v[174:175] offset0:6 offset1:7
	v_pk_fma_f32 v[140:141], v[46:47], s[24:25], v[50:51] op_sel:[0,0,1] op_sel_hi:[1,0,0] neg_lo:[0,0,1] neg_hi:[0,0,1]
	v_pk_fma_f32 v[46:47], v[46:47], s[24:25], v[50:51] op_sel:[0,0,1] op_sel_hi:[1,0,0]
	v_pk_fma_f32 v[50:51], v[44:45], s[28:29], v[48:49] op_sel:[0,0,1] op_sel_hi:[1,0,0] neg_lo:[0,0,1] neg_hi:[0,0,1]
	v_pk_fma_f32 v[44:45], v[44:45], s[28:29], v[48:49] op_sel:[0,0,1] op_sel_hi:[1,0,0]
	v_mov_b32_e32 v48, v140
	v_mov_b32_e32 v49, v47
	v_pk_add_f32 v[48:49], v[48:49], v[0:1]
	v_mov_b32_e32 v174, v50
	v_mov_b32_e32 v175, v45
	v_pk_add_f32 v[48:49], v[174:175], v[48:49]
	v_pk_fma_f32 v[174:175], v[40:41], s[22:23], v[42:43] op_sel:[0,0,1] op_sel_hi:[1,0,0] neg_lo:[0,0,1] neg_hi:[0,0,1]
	v_pk_fma_f32 v[40:41], v[40:41], s[22:23], v[42:43] op_sel:[0,0,1] op_sel_hi:[1,0,0]
	v_mov_b32_e32 v42, v174
	v_mov_b32_e32 v43, v41
	v_pk_add_f32 v[42:43], v[42:43], v[48:49]
	v_pk_fma_f32 v[48:49], v[36:37], s[8:9], v[38:39] op_sel:[0,0,1] op_sel_hi:[1,0,0] neg_lo:[0,0,1] neg_hi:[0,0,1]
	v_pk_fma_f32 v[36:37], v[36:37], s[8:9], v[38:39] op_sel:[0,0,1] op_sel_hi:[1,0,0]
	;; [unrolled: 5-line block ×3, first 2 shown]
	v_mov_b32_e32 v34, v42
	v_mov_b32_e32 v35, v33
	v_pk_add_f32 v[34:35], v[34:35], v[38:39]
	v_pk_mul_f32 v[38:39], v[54:55], s[42:43] op_sel_hi:[1,0]
	v_mov_b32_e32 v47, v141
	v_pk_fma_f32 v[54:55], v[52:53], s[34:35], v[38:39] op_sel:[0,0,1] op_sel_hi:[1,0,0] neg_lo:[0,0,1] neg_hi:[0,0,1]
	v_pk_fma_f32 v[38:39], v[52:53], s[34:35], v[38:39] op_sel:[0,0,1] op_sel_hi:[1,0,0]
	v_mov_b32_e32 v52, v54
	v_mov_b32_e32 v53, v39
	v_mov_b32_e32 v45, v51
	v_pk_add_f32 v[46:47], v[46:47], v[0:1]
	v_pk_add_f32 v[34:35], v[52:53], v[34:35]
	v_pk_mul_f32 v[52:53], v[60:61], s[38:39] op_sel_hi:[1,0]
	v_pk_add_f32 v[44:45], v[44:45], v[46:47]
	v_mov_b32_e32 v41, v175
	v_pk_fma_f32 v[60:61], v[58:59], s[20:21], v[52:53] op_sel:[0,0,1] op_sel_hi:[1,0,0] neg_lo:[0,0,1] neg_hi:[0,0,1]
	v_pk_fma_f32 v[52:53], v[58:59], s[20:21], v[52:53] op_sel:[0,0,1] op_sel_hi:[1,0,0]
	v_pk_add_f32 v[40:41], v[40:41], v[44:45]
	v_mov_b32_e32 v37, v49
	v_mov_b32_e32 v58, v60
	;; [unrolled: 1-line block ×3, first 2 shown]
	v_pk_add_f32 v[36:37], v[36:37], v[40:41]
	v_mov_b32_e32 v33, v43
	v_pk_add_f32 v[34:35], v[58:59], v[34:35]
	v_pk_mul_f32 v[58:59], v[64:65], s[50:51] op_sel_hi:[1,0]
	v_pk_add_f32 v[32:33], v[32:33], v[36:37]
	v_mov_b32_e32 v39, v55
	v_pk_fma_f32 v[64:65], v[62:63], s[4:5], v[58:59] op_sel:[0,0,1] op_sel_hi:[1,0,0] neg_lo:[0,0,1] neg_hi:[0,0,1]
	v_pk_fma_f32 v[58:59], v[62:63], s[4:5], v[58:59] op_sel:[0,0,1] op_sel_hi:[1,0,0]
	v_pk_add_f32 v[32:33], v[38:39], v[32:33]
	v_mov_b32_e32 v53, v61
	v_mov_b32_e32 v62, v64
	;; [unrolled: 1-line block ×3, first 2 shown]
	v_pk_add_f32 v[32:33], v[52:53], v[32:33]
	v_mov_b32_e32 v59, v65
	v_pk_add_f32 v[34:35], v[62:63], v[34:35]
	v_pk_add_f32 v[32:33], v[58:59], v[32:33]
	ds_write2_b64 v123, v[34:35], v[32:33] offset0:8 offset1:9
	v_pk_add_f32 v[32:33], v[170:171], v[0:1]
	v_pk_add_f32 v[34:35], v[124:125], v[0:1]
	;; [unrolled: 1-line block ×9, first 2 shown]
	v_mov_b32_e32 v193, v195
	v_pk_add_f32 v[34:35], v[154:155], v[34:35]
	v_mov_b32_e32 v159, v161
	v_pk_add_f32 v[32:33], v[192:193], v[32:33]
	;; [unrolled: 2-line block ×6, first 2 shown]
	v_pk_add_f32 v[34:35], v[166:167], v[34:35]
	v_mov_b32_e32 v105, v103
	v_mov_b32_e32 v69, v67
	;; [unrolled: 1-line block ×3, first 2 shown]
	ds_write2_b64 v123, v[32:33], v[34:35] offset0:10 offset1:11
	v_pk_add_f32 v[32:33], v[104:105], v[0:1]
	v_mov_b32_e32 v109, v107
	v_pk_add_f32 v[34:35], v[68:69], v[0:1]
	v_mov_b32_e32 v73, v71
	v_pk_add_f32 v[0:1], v[4:5], v[0:1]
	v_mov_b32_e32 v9, v7
	v_pk_add_f32 v[32:33], v[108:109], v[32:33]
	v_mov_b32_e32 v113, v111
	v_pk_add_f32 v[34:35], v[72:73], v[34:35]
	v_mov_b32_e32 v77, v75
	v_pk_add_f32 v[0:1], v[8:9], v[0:1]
	v_mov_b32_e32 v13, v11
	v_pk_add_f32 v[32:33], v[112:113], v[32:33]
	v_mov_b32_e32 v117, v115
	v_pk_add_f32 v[34:35], v[76:77], v[34:35]
	v_mov_b32_e32 v81, v79
	v_pk_add_f32 v[0:1], v[12:13], v[0:1]
	v_mov_b32_e32 v17, v15
	v_pk_add_f32 v[32:33], v[116:117], v[32:33]
	v_mov_b32_e32 v121, v119
	v_pk_add_f32 v[34:35], v[80:81], v[34:35]
	v_mov_b32_e32 v87, v85
	v_pk_add_f32 v[0:1], v[16:17], v[0:1]
	v_mov_b32_e32 v21, v19
	v_pk_add_f32 v[32:33], v[120:121], v[32:33]
	v_mov_b32_e32 v129, v127
	v_pk_add_f32 v[34:35], v[86:87], v[34:35]
	v_mov_b32_e32 v93, v89
	v_pk_add_f32 v[0:1], v[20:21], v[0:1]
	v_mov_b32_e32 v25, v23
	v_pk_add_f32 v[32:33], v[128:129], v[32:33]
	v_mov_b32_e32 v133, v131
	v_pk_add_f32 v[34:35], v[92:93], v[34:35]
	v_mov_b32_e32 v97, v95
	v_pk_add_f32 v[0:1], v[24:25], v[0:1]
	v_mov_b32_e32 v29, v27
	v_pk_add_f32 v[32:33], v[132:133], v[32:33]
	v_mov_b32_e32 v137, v135
	v_pk_add_f32 v[34:35], v[96:97], v[34:35]
	v_mov_b32_e32 v101, v99
	v_pk_add_f32 v[0:1], v[28:29], v[0:1]
	v_mov_b32_e32 v57, v31
	v_mov_b64_e32 v[196:197], v[206:207]
	v_pk_add_f32 v[32:33], v[136:137], v[32:33]
	v_pk_add_f32 v[34:35], v[100:101], v[34:35]
	;; [unrolled: 1-line block ×3, first 2 shown]
	ds_write2_b64 v123, v[32:33], v[34:35] offset0:12 offset1:13
	ds_write2_b64 v123, v[0:1], v[82:83] offset0:14 offset1:15
	ds_write_b64 v123, v[90:91] offset:128
.LBB0_7:
	s_or_b64 exec, exec, s[0:1]
	s_mov_b64 s[0:1], 0x165
	s_load_dwordx4 s[8:11], s[2:3], 0x0
	v_lshl_add_u64 v[0:1], v[196:197], 0, s[0:1]
	s_mov_b32 s2, 0xf0f1
	v_mul_u32_u24_sdwa v1, v0, s2 dst_sel:DWORD dst_unused:UNUSED_PAD src0_sel:WORD_0 src1_sel:DWORD
	s_mov_b64 s[0:1], 0x1dc
	v_lshrrev_b32_e32 v5, 20, v1
	v_lshl_add_u64 v[2:3], v[196:197], 0, s[0:1]
	v_mul_lo_u16_e32 v1, 17, v5
	v_sub_u16_e32 v9, v0, v1
	v_mul_u32_u24_sdwa v1, v2, s2 dst_sel:DWORD dst_unused:UNUSED_PAD src0_sel:WORD_0 src1_sel:DWORD
	v_lshrrev_b32_e32 v10, 20, v1
	v_mul_lo_u16_e32 v1, 17, v10
	v_sub_u16_e32 v11, v2, v1
	v_lshlrev_b16_e32 v1, 1, v11
	v_lshlrev_b32_e32 v1, 3, v1
	s_waitcnt lgkmcnt(0)
	s_barrier
	v_lshlrev_b16_e32 v0, 1, v9
	global_load_dwordx4 v[28:31], v1, s[14:15]
	v_lshlrev_b32_e32 v0, 3, v0
	global_load_dwordx4 v[24:27], v0, s[14:15]
	s_mov_b64 s[0:1], 0xee
	v_lshl_add_u64 v[0:1], v[196:197], 0, s[0:1]
	v_mul_u32_u24_sdwa v1, v0, s2 dst_sel:DWORD dst_unused:UNUSED_PAD src0_sel:WORD_0 src1_sel:DWORD
	v_lshrrev_b32_e32 v48, 20, v1
	v_mul_lo_u16_e32 v1, 17, v48
	v_sub_u16_e32 v49, v0, v1
	v_lshlrev_b16_e32 v1, 1, v49
	v_lshlrev_b32_e32 v1, 3, v1
	global_load_dwordx4 v[20:23], v1, s[14:15]
	s_movk_i32 s0, 0xf1
	v_add_u16_e32 v78, 0x77, v196
	v_mul_lo_u16_sdwa v1, v78, s0 dst_sel:DWORD dst_unused:UNUSED_PAD src0_sel:BYTE_0 src1_sel:DWORD
	v_lshrrev_b16_e32 v32, 12, v1
	v_mul_lo_u16_e32 v1, 17, v32
	v_sub_u16_e32 v1, v78, v1
	v_and_b32_e32 v50, 0xff, v1
	v_lshlrev_b32_e32 v1, 4, v50
	global_load_dwordx4 v[16:19], v1, s[14:15]
	v_mul_lo_u16_sdwa v1, v196, s0 dst_sel:DWORD dst_unused:UNUSED_PAD src0_sel:BYTE_0 src1_sel:DWORD
	v_lshrrev_b16_e32 v33, 12, v1
	v_mul_lo_u16_e32 v1, 17, v33
	v_sub_u16_e32 v1, v196, v1
	v_and_b32_e32 v51, 0xff, v1
	v_lshlrev_b32_e32 v1, 4, v51
	global_load_dwordx4 v[12:15], v1, s[14:15]
	v_mov_b32_e32 v1, 3
	v_lshlrev_b32_sdwa v8, v1, v196 dst_sel:DWORD dst_unused:UNUSED_PAD src0_sel:DWORD src1_sel:WORD_0
	v_add_u32_e32 v2, 0xc00, v8
	ds_read_b64 v[6:7], v8 offset:13328
	v_add_u32_e32 v1, 0x1c00, v8
	v_add_u32_e32 v4, 0x400, v8
	;; [unrolled: 1-line block ×3, first 2 shown]
	v_mul_u32_u24_e32 v52, 51, v33
	v_mul_u32_u24_e32 v53, 51, v32
	ds_read2_b64 v[32:35], v2 offset0:92 offset1:211
	ds_read2_b64 v[36:39], v1 offset0:56 offset1:175
	;; [unrolled: 1-line block ×4, first 2 shown]
	v_mad_legacy_u16 v48, v48, 51, v49
	v_mad_legacy_u16 v5, v5, 51, v9
	;; [unrolled: 1-line block ×3, first 2 shown]
	v_lshlrev_b32_e32 v80, 3, v48
	v_add_lshl_u32 v84, v52, v51, 3
	v_add_lshl_u32 v81, v53, v50, 3
	s_mov_b32 s0, 0x3f5db3d7
	v_lshlrev_b32_e32 v79, 3, v5
	v_add_u32_e32 v5, 0x1400, v8
	v_lshlrev_b32_e32 v197, 3, v9
	v_accvgpr_write_b32 a3, v79
	v_accvgpr_write_b32 a19, v84
	s_mov_b32 s2, 0x3f737871
	s_mov_b32 s4, 0x3f167918
	v_accvgpr_write_b32 a17, v81
	v_accvgpr_write_b32 a16, v80
                                        ; implicit-def: $vgpr132
                                        ; implicit-def: $vgpr130
                                        ; implicit-def: $vgpr128
                                        ; implicit-def: $vgpr126
                                        ; implicit-def: $vgpr134
	s_waitcnt vmcnt(4) lgkmcnt(2)
	v_pk_mul_f32 v[10:11], v[38:39], v[28:29] op_sel:[0,1]
	v_mov_b32_e32 v48, v31
	v_pk_fma_f32 v[54:55], v[38:39], v[28:29], v[10:11] op_sel:[0,0,1] op_sel_hi:[1,1,0] neg_lo:[0,0,1] neg_hi:[0,0,1]
	v_pk_fma_f32 v[10:11], v[38:39], v[28:29], v[10:11] op_sel:[0,0,1] op_sel_hi:[1,0,0]
	v_pk_mul_f32 v[38:39], v[6:7], v[48:49] op_sel_hi:[1,0]
	s_waitcnt vmcnt(3)
	v_pk_mul_f32 v[50:51], v[36:37], v[24:25] op_sel:[0,1]
	v_mov_b32_e32 v55, v11
	v_pk_fma_f32 v[10:11], v[6:7], v[30:31], v[38:39] op_sel:[0,0,1] op_sel_hi:[1,1,0] neg_lo:[0,0,1] neg_hi:[0,0,1]
	v_pk_fma_f32 v[6:7], v[6:7], v[30:31], v[38:39] op_sel:[0,0,1] op_sel_hi:[1,0,0]
	v_pk_fma_f32 v[56:57], v[36:37], v[24:25], v[50:51] op_sel:[0,0,1] op_sel_hi:[1,1,0] neg_lo:[0,0,1] neg_hi:[0,0,1]
	v_pk_fma_f32 v[36:37], v[36:37], v[24:25], v[50:51] op_sel:[0,0,1] op_sel_hi:[1,0,0]
	v_mov_b32_e32 v11, v7
	v_mov_b32_e32 v57, v37
	v_pk_add_f32 v[6:7], v[54:55], v[10:11]
	v_pk_add_f32 v[36:37], v[54:55], v[10:11] neg_lo:[0,1] neg_hi:[0,1]
	v_mov_b32_e32 v52, v27
	v_pk_fma_f32 v[6:7], v[6:7], 0.5, v[32:33] op_sel_hi:[1,0,1] neg_lo:[1,0,0] neg_hi:[1,0,0]
	v_pk_mul_f32 v[36:37], v[36:37], s[0:1] op_sel_hi:[1,0]
	s_waitcnt lgkmcnt(0)
	v_pk_mul_f32 v[48:49], v[46:47], v[52:53] op_sel_hi:[1,0]
	v_pk_add_f32 v[58:59], v[6:7], v[36:37] op_sel:[0,1] op_sel_hi:[1,0] neg_lo:[0,1] neg_hi:[0,1]
	v_pk_add_f32 v[60:61], v[6:7], v[36:37] op_sel:[0,1] op_sel_hi:[1,0]
	ds_read2_b64 v[36:39], v5 offset0:74 offset1:193
	v_pk_fma_f32 v[52:53], v[46:47], v[26:27], v[48:49] op_sel:[0,0,1] op_sel_hi:[1,1,0] neg_lo:[0,0,1] neg_hi:[0,0,1]
	v_pk_fma_f32 v[6:7], v[46:47], v[26:27], v[48:49] op_sel:[0,0,1] op_sel_hi:[1,0,0]
	v_pk_add_f32 v[32:33], v[32:33], v[54:55]
	v_mov_b32_e32 v53, v7
	v_pk_add_f32 v[6:7], v[56:57], v[52:53]
	v_pk_add_f32 v[46:47], v[56:57], v[52:53] neg_lo:[0,1] neg_hi:[0,1]
	v_pk_fma_f32 v[6:7], v[6:7], 0.5, v[42:43] op_sel_hi:[1,0,1] neg_lo:[1,0,0] neg_hi:[1,0,0]
	v_pk_mul_f32 v[46:47], v[46:47], s[0:1] op_sel_hi:[1,0]
	s_waitcnt vmcnt(1) lgkmcnt(0)
	v_pk_mul_f32 v[72:73], v[36:37], v[16:17] op_sel:[0,1]
	v_pk_add_f32 v[62:63], v[6:7], v[46:47] op_sel:[0,1] op_sel_hi:[1,0] neg_lo:[0,1] neg_hi:[0,1]
	v_pk_add_f32 v[64:65], v[6:7], v[46:47] op_sel:[0,1] op_sel_hi:[1,0]
	v_pk_mul_f32 v[6:7], v[38:39], v[20:21] op_sel:[0,1]
	v_pk_fma_f32 v[74:75], v[36:37], v[16:17], v[72:73] op_sel:[0,0,1] op_sel_hi:[1,1,0] neg_lo:[0,0,1] neg_hi:[0,0,1]
	v_pk_fma_f32 v[66:67], v[38:39], v[20:21], v[6:7] op_sel:[0,0,1] op_sel_hi:[1,1,0] neg_lo:[0,0,1] neg_hi:[0,0,1]
	v_pk_fma_f32 v[6:7], v[38:39], v[20:21], v[6:7] op_sel:[0,0,1] op_sel_hi:[1,0,0]
	v_pk_fma_f32 v[36:37], v[36:37], v[16:17], v[72:73] op_sel:[0,0,1] op_sel_hi:[1,0,0]
	v_mov_b32_e32 v6, v23
	v_mov_b32_e32 v67, v7
	v_pk_mul_f32 v[6:7], v[44:45], v[6:7] op_sel_hi:[1,0]
	v_mov_b32_e32 v36, v19
	v_pk_fma_f32 v[38:39], v[44:45], v[22:23], v[6:7] op_sel:[0,0,1] op_sel_hi:[1,1,0] neg_lo:[0,0,1] neg_hi:[0,0,1]
	v_pk_fma_f32 v[6:7], v[44:45], v[22:23], v[6:7] op_sel:[0,0,1] op_sel_hi:[1,0,0]
	v_mov_b32_e32 v75, v37
	v_mov_b32_e32 v39, v7
	v_pk_add_f32 v[6:7], v[66:67], v[38:39]
	v_pk_add_f32 v[44:45], v[66:67], v[38:39] neg_lo:[0,1] neg_hi:[0,1]
	v_pk_fma_f32 v[6:7], v[6:7], 0.5, v[40:41] op_sel_hi:[1,0,1] neg_lo:[1,0,0] neg_hi:[1,0,0]
	v_pk_mul_f32 v[44:45], v[44:45], s[0:1] op_sel_hi:[1,0]
	v_pk_add_f32 v[10:11], v[32:33], v[10:11]
	v_pk_add_f32 v[68:69], v[6:7], v[44:45] op_sel:[0,1] op_sel_hi:[1,0] neg_lo:[0,1] neg_hi:[0,1]
	v_pk_add_f32 v[70:71], v[6:7], v[44:45] op_sel:[0,1] op_sel_hi:[1,0]
	v_add_u32_e32 v6, 0x2400, v8
	ds_read2_b64 v[48:51], v6 offset0:38 offset1:157
	ds_read2_b64 v[44:47], v8 offset1:119
	s_waitcnt lgkmcnt(0)
	s_barrier
	v_pk_mul_f32 v[36:37], v[50:51], v[36:37] op_sel_hi:[1,0]
	v_mov_b32_e32 v32, v60
	v_pk_fma_f32 v[72:73], v[50:51], v[18:19], v[36:37] op_sel:[0,0,1] op_sel_hi:[1,1,0] neg_lo:[0,0,1] neg_hi:[0,0,1]
	v_pk_fma_f32 v[36:37], v[50:51], v[18:19], v[36:37] op_sel:[0,0,1] op_sel_hi:[1,0,0]
	s_waitcnt vmcnt(0)
	v_pk_mul_f32 v[50:51], v[34:35], v[12:13] op_sel:[0,1]
	v_mov_b32_e32 v73, v37
	v_pk_fma_f32 v[76:77], v[34:35], v[12:13], v[50:51] op_sel:[0,0,1] op_sel_hi:[1,1,0] neg_lo:[0,0,1] neg_hi:[0,0,1]
	v_pk_fma_f32 v[34:35], v[34:35], v[12:13], v[50:51] op_sel:[0,0,1] op_sel_hi:[1,0,0]
	v_pk_add_f32 v[36:37], v[46:47], v[74:75]
	v_mov_b32_e32 v34, v15
	v_mov_b32_e32 v77, v35
	v_pk_mul_f32 v[34:35], v[48:49], v[34:35] op_sel_hi:[1,0]
	v_pk_add_f32 v[36:37], v[36:37], v[72:73]
	v_pk_fma_f32 v[50:51], v[48:49], v[14:15], v[34:35] op_sel:[0,0,1] op_sel_hi:[1,1,0] neg_lo:[0,0,1] neg_hi:[0,0,1]
	v_pk_fma_f32 v[34:35], v[48:49], v[14:15], v[34:35] op_sel:[0,0,1] op_sel_hi:[1,0,0]
	v_mov_b32_e32 v33, v59
	v_mov_b32_e32 v51, v35
	v_pk_add_f32 v[48:49], v[76:77], v[50:51]
	v_pk_add_f32 v[34:35], v[44:45], v[76:77]
	v_pk_fma_f32 v[44:45], v[48:49], 0.5, v[44:45] op_sel_hi:[1,0,1] neg_lo:[1,0,0] neg_hi:[1,0,0]
	v_pk_add_f32 v[48:49], v[76:77], v[50:51] neg_lo:[0,1] neg_hi:[0,1]
	v_pk_add_f32 v[34:35], v[34:35], v[50:51]
	v_pk_mul_f32 v[48:49], v[48:49], s[0:1] op_sel_hi:[1,0]
	v_mov_b32_e32 v59, v61
	v_pk_add_f32 v[50:51], v[44:45], v[48:49] op_sel:[0,1] op_sel_hi:[1,0]
	v_pk_add_f32 v[44:45], v[44:45], v[48:49] op_sel:[0,1] op_sel_hi:[1,0] neg_lo:[0,1] neg_hi:[0,1]
	v_mov_b32_e32 v48, v50
	v_mov_b32_e32 v49, v45
	;; [unrolled: 1-line block ×3, first 2 shown]
	ds_write2_b64 v84, v[34:35], v[48:49] offset1:17
	ds_write_b64 v84, v[44:45] offset:272
	v_pk_add_f32 v[34:35], v[74:75], v[72:73]
	v_pk_add_f32 v[44:45], v[74:75], v[72:73] neg_lo:[0,1] neg_hi:[0,1]
	v_pk_fma_f32 v[34:35], v[34:35], 0.5, v[46:47] op_sel_hi:[1,0,1] neg_lo:[1,0,0] neg_hi:[1,0,0]
	v_pk_mul_f32 v[44:45], v[44:45], s[0:1] op_sel_hi:[1,0]
	s_mov_b32 s0, 0xa0a1
	v_pk_add_f32 v[46:47], v[34:35], v[44:45] op_sel:[0,1] op_sel_hi:[1,0]
	v_pk_add_f32 v[34:35], v[34:35], v[44:45] op_sel:[0,1] op_sel_hi:[1,0] neg_lo:[0,1] neg_hi:[0,1]
	v_mov_b32_e32 v44, v46
	v_mov_b32_e32 v45, v35
	;; [unrolled: 1-line block ×3, first 2 shown]
	ds_write_b64 v81, v[34:35] offset:272
	v_pk_add_f32 v[34:35], v[40:41], v[66:67]
	v_mul_u32_u24_sdwa v7, v0, s0 dst_sel:DWORD dst_unused:UNUSED_PAD src0_sel:WORD_0 src1_sel:DWORD
	ds_write2_b64 v81, v[36:37], v[44:45] offset1:17
	v_pk_add_f32 v[34:35], v[34:35], v[38:39]
	v_mov_b32_e32 v36, v70
	v_mov_b32_e32 v37, v69
	v_lshrrev_b32_e32 v7, 21, v7
	ds_write2_b64 v80, v[34:35], v[36:37] offset1:17
	v_pk_add_f32 v[34:35], v[42:43], v[56:57]
	v_mul_lo_u16_e32 v9, 51, v7
	v_mov_b32_e32 v69, v71
	v_pk_add_f32 v[34:35], v[34:35], v[52:53]
	v_mov_b32_e32 v36, v64
	v_mov_b32_e32 v37, v63
	;; [unrolled: 1-line block ×3, first 2 shown]
	v_sub_u16_e32 v9, v0, v9
	ds_write_b64 v80, v[68:69] offset:272
	ds_write2_b64 v79, v[34:35], v[36:37] offset1:17
	ds_write_b64 v79, v[62:63] offset:272
	ds_write2_b64 v197, v[10:11], v[32:33] offset1:17
	v_lshlrev_b16_e32 v10, 5, v9
	v_mov_b32_e32 v11, 0
	v_lshl_add_u64 v[10:11], s[14:15], 0, v[10:11]
	ds_write_b64 v197, v[58:59] offset:272
	s_waitcnt lgkmcnt(0)
	s_barrier
	global_load_dwordx4 v[60:63], v[10:11], off offset:272
	global_load_dwordx4 v[56:59], v[10:11], off offset:288
	s_movk_i32 s0, 0xa1
	v_mul_lo_u16_sdwa v10, v78, s0 dst_sel:DWORD dst_unused:UNUSED_PAD src0_sel:BYTE_0 src1_sel:DWORD
	v_lshrrev_b16_e32 v10, 13, v10
	v_mul_lo_u16_e32 v11, 51, v10
	v_sub_u16_e32 v11, v78, v11
	v_and_b32_e32 v11, 0xff, v11
	v_lshlrev_b32_e32 v32, 5, v11
	global_load_dwordx4 v[48:51], v32, s[14:15] offset:288
	global_load_dwordx4 v[52:55], v32, s[14:15] offset:272
	v_mul_lo_u16_sdwa v32, v196, s0 dst_sel:DWORD dst_unused:UNUSED_PAD src0_sel:BYTE_0 src1_sel:DWORD
	v_lshrrev_b16_e32 v36, 13, v32
	v_mul_lo_u16_e32 v32, 51, v36
	v_sub_u16_e32 v32, v196, v32
	v_and_b32_e32 v37, 0xff, v32
	v_lshlrev_b32_e32 v32, 5, v37
	global_load_dwordx4 v[40:43], v32, s[14:15] offset:288
	global_load_dwordx4 v[44:47], v32, s[14:15] offset:272
	v_mul_u32_u24_e32 v36, 0xff, v36
	v_add_lshl_u32 v123, v36, v37, 3
	ds_read2_b64 v[36:39], v2 offset0:92 offset1:211
	ds_read2_b64 v[32:35], v4 offset0:110 offset1:229
	;; [unrolled: 1-line block ×4, first 2 shown]
	ds_read_b64 v[72:73], v8 offset:13328
	s_movk_i32 s1, 0xff
	s_mov_b32 s0, 0x3e9e377a
	v_mul_u32_u24_e32 v10, 0xff, v10
	v_add_lshl_u32 v10, v10, v11, 3
	v_mad_legacy_u16 v7, v7, s1, v9
	v_lshlrev_b32_e32 v7, 3, v7
	v_accvgpr_write_b32 a26, v123
	v_accvgpr_write_b32 a21, v10
	;; [unrolled: 1-line block ×3, first 2 shown]
	s_waitcnt vmcnt(5) lgkmcnt(4)
	v_pk_mul_f32 v[74:75], v[38:39], v[60:61] op_sel:[0,1]
	s_nop 0
	v_pk_fma_f32 v[78:79], v[38:39], v[60:61], v[74:75] op_sel:[0,0,1] op_sel_hi:[1,1,0] neg_lo:[0,0,1] neg_hi:[0,0,1]
	v_pk_fma_f32 v[38:39], v[38:39], v[60:61], v[74:75] op_sel:[0,0,1] op_sel_hi:[1,0,0]
	s_waitcnt vmcnt(2)
	v_pk_mul_f32 v[106:107], v[36:37], v[52:53] op_sel:[0,1]
	v_mov_b32_e32 v38, v63
	s_waitcnt lgkmcnt(2)
	v_pk_mul_f32 v[74:75], v[64:65], v[38:39] op_sel_hi:[1,0]
	v_mov_b32_e32 v38, v59
	v_pk_fma_f32 v[88:89], v[64:65], v[62:63], v[74:75] op_sel:[0,0,1] op_sel_hi:[1,1,0] neg_lo:[0,0,1] neg_hi:[0,0,1]
	v_pk_fma_f32 v[64:65], v[64:65], v[62:63], v[74:75] op_sel:[0,0,1] op_sel_hi:[1,0,0]
	s_waitcnt lgkmcnt(1)
	v_pk_mul_f32 v[74:75], v[70:71], v[56:57] op_sel:[0,1]
	v_mov_b32_e32 v89, v65
	v_pk_fma_f32 v[92:93], v[70:71], v[56:57], v[74:75] op_sel:[0,0,1] op_sel_hi:[1,1,0] neg_lo:[0,0,1] neg_hi:[0,0,1]
	v_pk_fma_f32 v[70:71], v[70:71], v[56:57], v[74:75] op_sel:[0,0,1] op_sel_hi:[1,0,0]
	s_waitcnt lgkmcnt(0)
	v_pk_mul_f32 v[74:75], v[72:73], v[38:39] op_sel_hi:[1,0]
	v_mov_b32_e32 v93, v71
	v_pk_fma_f32 v[94:95], v[72:73], v[58:59], v[74:75] op_sel:[0,0,1] op_sel_hi:[1,1,0] neg_lo:[0,0,1] neg_hi:[0,0,1]
	v_pk_fma_f32 v[72:73], v[72:73], v[58:59], v[74:75] op_sel:[0,0,1] op_sel_hi:[1,0,0]
	v_mov_b32_e32 v79, v39
	v_mov_b32_e32 v95, v73
	v_pk_add_f32 v[74:75], v[88:89], v[92:93]
	v_mov_b32_e32 v38, v39
	v_mov_b32_e32 v39, v78
	;; [unrolled: 1-line block ×8, first 2 shown]
	v_pk_fma_f32 v[74:75], v[74:75], 0.5, v[32:33] op_sel_hi:[1,0,1] neg_lo:[1,0,0] neg_hi:[1,0,0]
	v_pk_add_f32 v[76:77], v[38:39], v[72:73] neg_lo:[0,1] neg_hi:[0,1]
	v_pk_add_f32 v[84:85], v[64:65], v[70:71] neg_lo:[0,1] neg_hi:[0,1]
	;; [unrolled: 1-line block ×6, first 2 shown]
	v_pk_add_f32 v[38:39], v[38:39], v[64:65]
	v_pk_add_f32 v[96:97], v[70:71], v[72:73]
	v_pk_fma_f32 v[70:71], v[76:77], s[2:3], v[74:75] op_sel_hi:[1,0,1]
	v_pk_fma_f32 v[72:73], v[76:77], s[2:3], v[74:75] op_sel_hi:[1,0,1] neg_lo:[1,0,0] neg_hi:[1,0,0]
	v_pk_add_f32 v[64:65], v[78:79], v[94:95]
	v_pk_fma_f32 v[98:99], v[84:85], s[4:5], v[70:71] op_sel_hi:[1,0,1]
	v_pk_fma_f32 v[100:101], v[84:85], s[4:5], v[72:73] op_sel_hi:[1,0,1] neg_lo:[1,0,0] neg_hi:[1,0,0]
	v_pk_mul_f32 v[38:39], v[38:39], s[0:1] op_sel_hi:[1,0]
	v_pk_fma_f32 v[64:65], v[64:65], 0.5, v[32:33] op_sel_hi:[1,0,1] neg_lo:[1,0,0] neg_hi:[1,0,0]
	v_mov_b32_e32 v70, v100
	v_mov_b32_e32 v71, v99
	v_pk_add_f32 v[80:81], v[38:39], v[70:71] op_sel:[1,0] op_sel_hi:[0,1]
	v_pk_fma_f32 v[70:71], v[84:85], s[2:3], v[64:65] op_sel_hi:[1,0,1]
	v_pk_fma_f32 v[64:65], v[84:85], s[2:3], v[64:65] op_sel_hi:[1,0,1] neg_lo:[1,0,0] neg_hi:[1,0,0]
	v_pk_fma_f32 v[102:103], v[76:77], s[4:5], v[70:71] op_sel_hi:[1,0,1] neg_lo:[1,0,0] neg_hi:[1,0,0]
	v_pk_fma_f32 v[64:65], v[76:77], s[4:5], v[64:65] op_sel_hi:[1,0,1]
	v_mov_b32_e32 v70, v102
	v_mov_b32_e32 v71, v65
	v_pk_fma_f32 v[104:105], v[96:97], s[0:1], v[70:71] op_sel_hi:[1,0,1]
	ds_read2_b64 v[70:73], v8 offset1:119
	ds_read2_b64 v[74:77], v5 offset0:74 offset1:193
	ds_read2_b64 v[84:87], v3 offset0:20 offset1:139
	v_pk_fma_f32 v[108:109], v[36:37], v[52:53], v[106:107] op_sel:[0,0,1] op_sel_hi:[1,1,0] neg_lo:[0,0,1] neg_hi:[0,0,1]
	v_pk_fma_f32 v[36:37], v[36:37], v[52:53], v[106:107] op_sel:[0,0,1] op_sel_hi:[1,0,0]
	s_waitcnt lgkmcnt(0)
	v_mov_b32_e32 v36, v55
	v_mov_b32_e32 v109, v37
	v_pk_mul_f32 v[36:37], v[76:77], v[36:37] op_sel_hi:[1,0]
	s_barrier
	v_pk_fma_f32 v[106:107], v[76:77], v[54:55], v[36:37] op_sel:[0,0,1] op_sel_hi:[1,1,0] neg_lo:[0,0,1] neg_hi:[0,0,1]
	v_pk_fma_f32 v[36:37], v[76:77], v[54:55], v[36:37] op_sel:[0,0,1] op_sel_hi:[1,0,0]
	s_nop 0
	v_mov_b32_e32 v107, v37
	v_pk_mul_f32 v[36:37], v[68:69], v[48:49] op_sel:[0,1]
	v_pk_add_f32 v[32:33], v[32:33], v[78:79]
	v_pk_fma_f32 v[76:77], v[68:69], v[48:49], v[36:37] op_sel:[0,0,1] op_sel_hi:[1,1,0] neg_lo:[0,0,1] neg_hi:[0,0,1]
	v_pk_fma_f32 v[36:37], v[68:69], v[48:49], v[36:37] op_sel:[0,0,1] op_sel_hi:[1,0,0]
	v_pk_add_f32 v[32:33], v[32:33], v[88:89]
	v_mov_b32_e32 v36, v51
	v_mov_b32_e32 v77, v37
	v_pk_mul_f32 v[36:37], v[86:87], v[36:37] op_sel_hi:[1,0]
	v_pk_add_f32 v[32:33], v[32:33], v[92:93]
	v_pk_fma_f32 v[68:69], v[86:87], v[50:51], v[36:37] op_sel:[0,0,1] op_sel_hi:[1,1,0] neg_lo:[0,0,1] neg_hi:[0,0,1]
	v_pk_fma_f32 v[36:37], v[86:87], v[50:51], v[36:37] op_sel:[0,0,1] op_sel_hi:[1,0,0]
	s_waitcnt vmcnt(0)
	v_pk_mul_f32 v[86:87], v[34:35], v[44:45] op_sel:[0,1]
	v_mov_b32_e32 v69, v37
	v_pk_fma_f32 v[110:111], v[34:35], v[44:45], v[86:87] op_sel:[0,0,1] op_sel_hi:[1,1,0] neg_lo:[0,0,1] neg_hi:[0,0,1]
	v_pk_fma_f32 v[34:35], v[34:35], v[44:45], v[86:87] op_sel:[0,0,1] op_sel_hi:[1,0,0]
	v_pk_add_f32 v[36:37], v[72:73], v[108:109]
	v_mov_b32_e32 v34, v47
	v_mov_b32_e32 v111, v35
	v_pk_mul_f32 v[34:35], v[74:75], v[34:35] op_sel_hi:[1,0]
	v_pk_add_f32 v[36:37], v[36:37], v[106:107]
	v_pk_fma_f32 v[86:87], v[74:75], v[46:47], v[34:35] op_sel:[0,0,1] op_sel_hi:[1,1,0] neg_lo:[0,0,1] neg_hi:[0,0,1]
	v_pk_fma_f32 v[34:35], v[74:75], v[46:47], v[34:35] op_sel:[0,0,1] op_sel_hi:[1,0,0]
	v_pk_add_f32 v[36:37], v[36:37], v[76:77]
	v_mov_b32_e32 v87, v35
	v_pk_mul_f32 v[34:35], v[66:67], v[40:41] op_sel:[0,1]
	v_pk_add_f32 v[120:121], v[110:111], v[86:87] neg_lo:[0,1] neg_hi:[0,1]
	v_pk_fma_f32 v[74:75], v[66:67], v[40:41], v[34:35] op_sel:[0,0,1] op_sel_hi:[1,1,0] neg_lo:[0,0,1] neg_hi:[0,0,1]
	v_pk_fma_f32 v[34:35], v[66:67], v[40:41], v[34:35] op_sel:[0,0,1] op_sel_hi:[1,0,0]
	v_pk_add_f32 v[36:37], v[36:37], v[68:69]
	v_mov_b32_e32 v34, v43
	v_mov_b32_e32 v75, v35
	v_pk_mul_f32 v[34:35], v[84:85], v[34:35] op_sel_hi:[1,0]
	v_pk_add_f32 v[116:117], v[86:87], v[74:75] neg_lo:[0,1] neg_hi:[0,1]
	v_pk_fma_f32 v[66:67], v[84:85], v[42:43], v[34:35] op_sel:[0,0,1] op_sel_hi:[1,1,0] neg_lo:[0,0,1] neg_hi:[0,0,1]
	v_pk_fma_f32 v[34:35], v[84:85], v[42:43], v[34:35] op_sel:[0,0,1] op_sel_hi:[1,0,0]
	v_pk_add_f32 v[84:85], v[86:87], v[74:75]
	v_mov_b32_e32 v67, v35
	v_pk_add_f32 v[112:113], v[110:111], v[66:67] neg_lo:[0,1] neg_hi:[0,1]
	v_pk_fma_f32 v[84:85], v[84:85], 0.5, v[70:71] op_sel_hi:[1,0,1] neg_lo:[1,0,0] neg_hi:[1,0,0]
	v_pk_mul_f32 v[114:115], v[112:113], s[2:3] op_sel_hi:[1,0]
	v_pk_add_f32 v[124:125], v[66:67], v[74:75] neg_lo:[0,1] neg_hi:[0,1]
	v_pk_add_f32 v[34:35], v[70:71], v[110:111]
	v_pk_mul_f32 v[118:119], v[116:117], s[4:5] op_sel_hi:[1,0]
	v_pk_add_f32 v[120:121], v[120:121], v[124:125]
	v_pk_add_f32 v[124:125], v[84:85], v[114:115] op_sel:[0,1] op_sel_hi:[1,0]
	v_pk_add_f32 v[84:85], v[84:85], v[114:115] op_sel:[0,1] op_sel_hi:[1,0] neg_lo:[0,1] neg_hi:[0,1]
	v_pk_add_f32 v[34:35], v[34:35], v[86:87]
	v_pk_add_f32 v[84:85], v[84:85], v[118:119] op_sel:[0,1] op_sel_hi:[1,0] neg_lo:[0,1] neg_hi:[0,1]
	v_pk_add_f32 v[114:115], v[124:125], v[118:119] op_sel:[0,1] op_sel_hi:[1,0]
	v_pk_add_f32 v[34:35], v[34:35], v[74:75]
	v_mov_b32_e32 v118, v114
	v_mov_b32_e32 v119, v85
	v_pk_add_f32 v[34:35], v[34:35], v[66:67]
	v_pk_fma_f32 v[118:119], v[120:121], s[0:1], v[118:119] op_sel_hi:[1,0,1]
	ds_write2_b64 v123, v[34:35], v[118:119] offset1:51
	v_pk_add_f32 v[34:35], v[110:111], v[66:67]
	v_pk_add_f32 v[66:67], v[74:75], v[66:67] neg_lo:[0,1] neg_hi:[0,1]
	v_pk_fma_f32 v[34:35], v[34:35], 0.5, v[70:71] op_sel_hi:[1,0,1] neg_lo:[1,0,0] neg_hi:[1,0,0]
	v_pk_add_f32 v[70:71], v[86:87], v[110:111] neg_lo:[0,1] neg_hi:[0,1]
	v_pk_mul_f32 v[74:75], v[112:113], s[4:5] op_sel_hi:[1,0]
	v_pk_add_f32 v[66:67], v[70:71], v[66:67]
	v_pk_mul_f32 v[70:71], v[116:117], s[2:3] op_sel_hi:[1,0]
	v_mov_b32_e32 v85, v115
	v_pk_add_f32 v[86:87], v[34:35], v[70:71] op_sel:[0,1] op_sel_hi:[1,0] neg_lo:[0,1] neg_hi:[0,1]
	v_pk_add_f32 v[34:35], v[34:35], v[70:71] op_sel:[0,1] op_sel_hi:[1,0]
	v_pk_add_f32 v[70:71], v[86:87], v[74:75] op_sel:[0,1] op_sel_hi:[1,0]
	v_pk_add_f32 v[34:35], v[34:35], v[74:75] op_sel:[0,1] op_sel_hi:[1,0] neg_lo:[0,1] neg_hi:[0,1]
	v_mov_b32_e32 v74, v70
	v_mov_b32_e32 v75, v35
	;; [unrolled: 1-line block ×3, first 2 shown]
	v_pk_fma_f32 v[74:75], v[66:67], s[0:1], v[74:75] op_sel_hi:[1,0,1]
	v_pk_fma_f32 v[34:35], v[66:67], s[0:1], v[34:35] op_sel_hi:[1,0,1]
	ds_write2_b64 v123, v[74:75], v[34:35] offset0:102 offset1:153
	v_pk_fma_f32 v[34:35], v[120:121], s[0:1], v[84:85] op_sel_hi:[1,0,1]
	ds_write_b64 v123, v[34:35] offset:1632
	v_pk_add_f32 v[34:35], v[106:107], v[76:77]
	v_pk_add_f32 v[66:67], v[108:109], v[68:69] neg_lo:[0,1] neg_hi:[0,1]
	v_pk_fma_f32 v[34:35], v[34:35], 0.5, v[72:73] op_sel_hi:[1,0,1] neg_lo:[1,0,0] neg_hi:[1,0,0]
	v_pk_mul_f32 v[70:71], v[66:67], s[2:3] op_sel_hi:[1,0]
	v_pk_add_f32 v[74:75], v[106:107], v[76:77] neg_lo:[0,1] neg_hi:[0,1]
	v_pk_add_f32 v[86:87], v[108:109], v[106:107] neg_lo:[0,1] neg_hi:[0,1]
	;; [unrolled: 1-line block ×3, first 2 shown]
	v_pk_mul_f32 v[84:85], v[74:75], s[4:5] op_sel_hi:[1,0]
	v_pk_add_f32 v[86:87], v[86:87], v[110:111]
	v_pk_add_f32 v[110:111], v[34:35], v[70:71] op_sel:[0,1] op_sel_hi:[1,0]
	v_pk_add_f32 v[34:35], v[34:35], v[70:71] op_sel:[0,1] op_sel_hi:[1,0] neg_lo:[0,1] neg_hi:[0,1]
	v_pk_add_f32 v[70:71], v[110:111], v[84:85] op_sel:[0,1] op_sel_hi:[1,0]
	v_pk_add_f32 v[34:35], v[34:35], v[84:85] op_sel:[0,1] op_sel_hi:[1,0] neg_lo:[0,1] neg_hi:[0,1]
	v_mov_b32_e32 v84, v70
	v_mov_b32_e32 v85, v35
	v_pk_fma_f32 v[84:85], v[86:87], s[0:1], v[84:85] op_sel_hi:[1,0,1]
	ds_write2_b64 v10, v[36:37], v[84:85] offset1:51
	v_pk_add_f32 v[36:37], v[108:109], v[68:69]
	v_pk_add_f32 v[68:69], v[76:77], v[68:69] neg_lo:[0,1] neg_hi:[0,1]
	v_pk_fma_f32 v[36:37], v[36:37], 0.5, v[72:73] op_sel_hi:[1,0,1] neg_lo:[1,0,0] neg_hi:[1,0,0]
	v_pk_add_f32 v[72:73], v[106:107], v[108:109] neg_lo:[0,1] neg_hi:[0,1]
	v_pk_mul_f32 v[66:67], v[66:67], s[4:5] op_sel_hi:[1,0]
	v_pk_add_f32 v[68:69], v[72:73], v[68:69]
	v_pk_mul_f32 v[72:73], v[74:75], s[2:3] op_sel_hi:[1,0]
	v_mov_b32_e32 v35, v71
	v_pk_add_f32 v[74:75], v[36:37], v[72:73] op_sel:[0,1] op_sel_hi:[1,0] neg_lo:[0,1] neg_hi:[0,1]
	v_pk_add_f32 v[36:37], v[36:37], v[72:73] op_sel:[0,1] op_sel_hi:[1,0]
	v_pk_fma_f32 v[34:35], v[86:87], s[0:1], v[34:35] op_sel_hi:[1,0,1]
	v_pk_add_f32 v[36:37], v[36:37], v[66:67] op_sel:[0,1] op_sel_hi:[1,0] neg_lo:[0,1] neg_hi:[0,1]
	v_pk_add_f32 v[66:67], v[74:75], v[66:67] op_sel:[0,1] op_sel_hi:[1,0]
	v_mov_b32_e32 v73, v37
	v_mov_b32_e32 v72, v66
	;; [unrolled: 1-line block ×4, first 2 shown]
	v_pk_fma_f32 v[72:73], v[68:69], s[0:1], v[72:73] op_sel_hi:[1,0,1]
	v_pk_fma_f32 v[36:37], v[68:69], s[0:1], v[36:37] op_sel_hi:[1,0,1]
	ds_write_b64 v10, v[34:35] offset:1632
	v_pk_add_f32 v[32:33], v[32:33], v[94:95]
	v_pk_add_f32 v[34:35], v[38:39], v[98:99] op_sel:[1,0] op_sel_hi:[0,1]
	v_mov_b32_e32 v65, v103
	ds_write2_b64 v10, v[72:73], v[36:37] offset0:102 offset1:153
	ds_write2_b64 v7, v[32:33], v[34:35] offset1:51
	v_pk_fma_f32 v[32:33], v[96:97], s[0:1], v[64:65] op_sel_hi:[1,0,1]
	ds_write2_b64 v7, v[32:33], v[104:105] offset0:102 offset1:153
	ds_write_b64 v7, v[80:81] offset:1632
	s_waitcnt lgkmcnt(0)
	s_barrier
	ds_read2_b64 v[94:97], v8 offset1:119
	ds_read2_b64 v[110:113], v4 offset0:127 offset1:246
	ds_read2_b64 v[118:121], v5 offset0:125 offset1:244
	;; [unrolled: 1-line block ×6, first 2 shown]
	v_cmp_lt_u16_e64 s[4:5], 16, v196
	v_cmp_gt_u16_e64 s[2:3], 17, v196
                                        ; implicit-def: $vgpr108
	s_and_saveexec_b64 s[0:1], s[2:3]
	s_cbranch_execz .LBB0_9
; %bb.8:
	v_add_u32_e32 v7, 0x1760, v8
	ds_read2_b64 v[90:93], v7 offset1:255
	v_add_u32_e32 v7, 0x2750, v8
	ds_read2_b64 v[106:109], v7 offset1:255
	ds_read_b64 v[128:129], v8 offset:14144
	v_add_u32_e32 v7, 0x770, v8
	ds_read2_b64 v[80:83], v7 offset1:255
	s_waitcnt lgkmcnt(3)
	v_mov_b32_e32 v132, v93
	s_waitcnt lgkmcnt(2)
	v_mov_b32_e32 v130, v109
	;; [unrolled: 2-line block ×3, first 2 shown]
	v_mov_b32_e32 v134, v107
.LBB0_9:
	s_or_b64 exec, exec, s[0:1]
	v_mad_u64_u32 v[32:33], s[0:1], v196, 48, s[14:15]
	s_mov_b64 s[0:1], 0x1dc0
	s_nop 0
	v_lshl_add_u64 v[34:35], v[32:33], 0, s[0:1]
	s_movk_i32 s0, 0x1000
	global_load_dwordx4 v[72:75], v[32:33], off offset:1920
	global_load_dwordx4 v[162:165], v[32:33], off offset:1904
	;; [unrolled: 1-line block ×4, first 2 shown]
	v_add_co_u32_e32 v32, vcc, s0, v32
	v_subrev_u32_e32 v7, 17, v196
	s_nop 0
	v_addc_co_u32_e32 v33, vcc, 0, v33, vcc
	global_load_dwordx4 v[36:39], v[32:33], off offset:3520
	global_load_dwordx4 v[158:161], v[34:35], off offset:32
	v_cndmask_b32_e64 v0, v7, v0, s[2:3]
	v_mul_hi_i32_i24_e32 v89, 48, v0
	v_mul_i32_i24_e32 v88, 48, v0
	v_lshl_add_u64 v[88:89], s[14:15], 0, v[88:89]
	global_load_dwordx4 v[64:67], v[88:89], off offset:1936
	global_load_dwordx4 v[154:157], v[88:89], off offset:1920
	;; [unrolled: 1-line block ×3, first 2 shown]
	s_mov_b32 s14, 0x3f4a47b2
	s_mov_b32 s18, 0x3d64c772
	;; [unrolled: 1-line block ×8, first 2 shown]
	s_waitcnt vmcnt(8) lgkmcnt(4)
	v_pk_mul_f32 v[88:89], v[118:119], v[72:73] op_sel:[0,1]
	v_mov_b32_e32 v0, v75
	s_waitcnt vmcnt(7)
	v_pk_mul_f32 v[124:125], v[110:111], v[162:163] op_sel:[0,1]
	v_mov_b32_e32 v136, v165
	s_waitcnt vmcnt(6) lgkmcnt(1)
	v_pk_mul_f32 v[138:139], v[114:115], v[166:167] op_sel:[0,1]
	v_mov_b32_e32 v140, v169
	s_waitcnt vmcnt(5)
	v_mul_f32_e32 v9, v101, v79
	v_mul_f32_e32 v109, v100, v79
	s_waitcnt vmcnt(4)
	v_mul_f32_e32 v11, v87, v39
	v_mul_f32_e32 v144, v86, v39
	v_pk_fma_f32 v[150:151], v[118:119], v[72:73], v[88:89] op_sel:[0,0,1] op_sel_hi:[1,1,0] neg_lo:[0,0,1] neg_hi:[0,0,1]
	v_pk_fma_f32 v[88:89], v[118:119], v[72:73], v[88:89] op_sel:[0,0,1] op_sel_hi:[1,0,0]
	v_pk_mul_f32 v[118:119], v[98:99], v[0:1] op_sel_hi:[1,0]
	v_pk_fma_f32 v[152:153], v[110:111], v[162:163], v[124:125] op_sel:[0,0,1] op_sel_hi:[1,1,0] neg_lo:[0,0,1] neg_hi:[0,0,1]
	v_pk_fma_f32 v[110:111], v[110:111], v[162:163], v[124:125] op_sel:[0,0,1] op_sel_hi:[1,0,0]
	v_pk_mul_f32 v[124:125], v[84:85], v[136:137] op_sel_hi:[1,0]
	v_pk_fma_f32 v[136:137], v[114:115], v[166:167], v[138:139] op_sel:[0,0,1] op_sel_hi:[1,1,0] neg_lo:[0,0,1] neg_hi:[0,0,1]
	v_pk_fma_f32 v[114:115], v[114:115], v[166:167], v[138:139] op_sel:[0,0,1] op_sel_hi:[1,0,0]
	s_waitcnt lgkmcnt(0)
	v_pk_mul_f32 v[138:139], v[102:103], v[140:141] op_sel_hi:[1,0]
	v_fma_f32 v114, v100, v78, -v9
	v_fmac_f32_e32 v109, v101, v78
	v_fma_f32 v145, v86, v38, -v11
	v_fmac_f32_e32 v144, v87, v38
	v_mov_b32_e32 v151, v89
	v_pk_fma_f32 v[86:87], v[98:99], v[74:75], v[118:119] op_sel:[0,0,1] op_sel_hi:[1,1,0] neg_lo:[0,0,1] neg_hi:[0,0,1]
	v_pk_fma_f32 v[88:89], v[98:99], v[74:75], v[118:119] op_sel:[0,0,1] op_sel_hi:[1,0,0]
	v_pk_fma_f32 v[98:99], v[84:85], v[164:165], v[124:125] op_sel:[0,0,1] op_sel_hi:[1,1,0] neg_lo:[0,0,1] neg_hi:[0,0,1]
	v_pk_fma_f32 v[84:85], v[84:85], v[164:165], v[124:125] op_sel:[0,0,1] op_sel_hi:[1,0,0]
	;; [unrolled: 2-line block ×3, first 2 shown]
	v_mov_b32_e32 v153, v111
	v_mov_b32_e32 v137, v115
	;; [unrolled: 1-line block ×4, first 2 shown]
	s_waitcnt vmcnt(3)
	v_mul_f32_e32 v33, v105, v161
	v_mul_f32_e32 v148, v104, v161
	v_mov_b32_e32 v87, v89
	v_pk_add_f32 v[84:85], v[152:153], v[100:101]
	v_pk_add_f32 v[88:89], v[152:153], v[100:101] neg_lo:[0,1] neg_hi:[0,1]
	v_pk_add_f32 v[100:101], v[98:99], v[136:137]
	v_mul_f32_e32 v7, v121, v77
	v_mul_f32_e32 v93, v120, v77
	;; [unrolled: 1-line block ×6, first 2 shown]
	v_fma_f32 v149, v104, v160, -v33
	v_fmac_f32_e32 v148, v105, v160
	v_pk_add_f32 v[98:99], v[98:99], v[136:137] neg_lo:[0,1] neg_hi:[0,1]
	v_pk_add_f32 v[102:103], v[150:151], v[86:87]
	v_pk_add_f32 v[86:87], v[86:87], v[150:151] neg_lo:[0,1] neg_hi:[0,1]
	v_pk_add_f32 v[104:105], v[100:101], v[84:85]
	v_fma_f32 v110, v120, v76, -v7
	v_fmac_f32_e32 v93, v121, v76
	v_fma_f32 v143, v112, v36, -v10
	v_fmac_f32_e32 v142, v113, v36
	;; [unrolled: 2-line block ×3, first 2 shown]
	v_pk_add_f32 v[112:113], v[100:101], v[84:85] neg_lo:[0,1] neg_hi:[0,1]
	v_pk_add_f32 v[84:85], v[84:85], v[102:103] neg_lo:[0,1] neg_hi:[0,1]
	;; [unrolled: 1-line block ×3, first 2 shown]
	v_pk_add_f32 v[116:117], v[86:87], v[98:99] op_sel:[1,1] op_sel_hi:[0,0]
	v_pk_add_f32 v[118:119], v[86:87], v[98:99] op_sel:[1,1] op_sel_hi:[0,0] neg_lo:[0,1] neg_hi:[0,1]
	v_pk_add_f32 v[120:121], v[88:89], v[86:87] op_sel:[1,1] op_sel_hi:[0,0] neg_lo:[0,1] neg_hi:[0,1]
	v_mov_b32_e32 v86, v104
	v_mov_b32_e32 v87, v103
	;; [unrolled: 1-line block ×3, first 2 shown]
	v_pk_add_f32 v[102:103], v[86:87], v[102:103]
	v_pk_add_f32 v[98:99], v[98:99], v[88:89] op_sel:[1,1] op_sel_hi:[0,0] neg_lo:[0,1] neg_hi:[0,1]
	v_pk_add_f32 v[86:87], v[94:95], v[102:103]
	v_pk_mul_f32 v[94:95], v[84:85], s[14:15] op_sel_hi:[1,0]
	v_pk_mul_f32 v[100:101], v[100:101], s[18:19] op_sel_hi:[1,0]
	;; [unrolled: 1-line block ×3, first 2 shown]
	v_pk_add_f32 v[88:89], v[116:117], v[88:89] op_sel:[0,1] op_sel_hi:[1,0]
	v_pk_mul_f32 v[116:117], v[98:99], s[26:27] op_sel_hi:[1,0]
	v_pk_fma_f32 v[102:103], v[102:103], s[24:25], v[86:87] op_sel_hi:[1,0,1] neg_lo:[1,0,0] neg_hi:[1,0,0]
	v_pk_fma_f32 v[84:85], v[84:85], s[14:15], v[100:101] op_sel_hi:[1,0,1]
	v_pk_fma_f32 v[100:101], v[112:113], s[20:21], v[100:101] op_sel_hi:[1,0,1] neg_lo:[0,0,1] neg_hi:[0,0,1]
	v_pk_fma_f32 v[94:95], v[112:113], s[20:21], v[94:95] op_sel_hi:[1,0,1] neg_lo:[1,0,1] neg_hi:[1,0,1]
	v_pk_fma_f32 v[112:113], v[120:121], s[22:23], v[104:105] op_sel_hi:[1,0,1]
	v_pk_fma_f32 v[98:99], v[98:99], s[26:27], v[104:105] op_sel_hi:[1,0,1] neg_lo:[0,0,1] neg_hi:[0,0,1]
	v_pk_fma_f32 v[104:105], v[120:121], s[22:23], v[116:117] op_sel_hi:[1,0,1] neg_lo:[1,0,1] neg_hi:[1,0,1]
	v_pk_add_f32 v[84:85], v[84:85], v[102:103]
	v_pk_add_f32 v[100:101], v[100:101], v[102:103]
	;; [unrolled: 1-line block ×3, first 2 shown]
	v_pk_fma_f32 v[94:95], v[88:89], s[0:1], v[112:113] op_sel_hi:[1,0,1]
	v_pk_fma_f32 v[112:113], v[88:89], s[0:1], v[98:99] op_sel_hi:[1,0,1]
	;; [unrolled: 1-line block ×3, first 2 shown]
	v_pk_add_f32 v[116:117], v[84:85], v[94:95]
	v_pk_add_f32 v[94:95], v[84:85], v[94:95] neg_lo:[0,1] neg_hi:[0,1]
	v_mov_b32_e32 v88, v116
	v_mov_b32_e32 v89, v95
	v_pk_add_f32 v[84:85], v[102:103], v[98:99]
	v_pk_add_f32 v[104:105], v[102:103], v[98:99] neg_lo:[0,1] neg_hi:[0,1]
	v_pk_add_f32 v[118:119], v[100:101], v[112:113] neg_lo:[0,1] neg_hi:[0,1]
	v_pk_add_f32 v[102:103], v[100:101], v[112:113]
	v_mov_b32_e32 v95, v117
	s_waitcnt vmcnt(1)
	v_pk_mul_f32 v[116:117], v[132:133], v[154:155] op_sel_hi:[0,1]
	v_mov_b32_e32 v100, v118
	v_mov_b32_e32 v101, v103
	;; [unrolled: 1-line block ×3, first 2 shown]
	v_pk_fma_f32 v[118:119], v[92:93], v[154:155], v[116:117] op_sel:[0,0,1] op_sel_hi:[0,1,0]
	v_pk_fma_f32 v[116:117], v[92:93], v[154:155], v[116:117] op_sel:[0,0,1] op_sel_hi:[0,1,0] neg_lo:[0,0,1] neg_hi:[0,0,1]
	v_mov_b32_e32 v10, v157
	v_mov_b32_e32 v11, v156
	;; [unrolled: 1-line block ×3, first 2 shown]
	v_pk_mul_f32 v[118:119], v[134:135], v[10:11] op_sel_hi:[0,1]
	v_mov_b32_e32 v0, v83
	v_pk_fma_f32 v[120:121], v[106:107], v[156:157], v[118:119] op_sel_hi:[0,1,1]
	v_pk_fma_f32 v[106:107], v[106:107], v[156:157], v[118:119] op_sel_hi:[0,1,1] neg_lo:[0,0,1] neg_hi:[0,0,1]
	s_waitcnt vmcnt(0)
	v_pk_mul_f32 v[118:119], v[0:1], v[68:69] op_sel_hi:[0,1]
	v_mov_b32_e32 v0, v91
	v_mov_b32_e32 v107, v121
	v_pk_fma_f32 v[120:121], v[82:83], v[68:69], v[118:119] op_sel:[0,0,1] op_sel_hi:[0,1,0]
	v_pk_fma_f32 v[82:83], v[82:83], v[68:69], v[118:119] op_sel:[0,0,1] op_sel_hi:[0,1,0] neg_lo:[0,0,1] neg_hi:[0,0,1]
	v_pk_mul_f32 v[118:119], v[0:1], v[70:71] op_sel_hi:[0,1]
	v_mov_b32_e32 v83, v121
	v_pk_fma_f32 v[120:121], v[90:91], v[70:71], v[118:119] op_sel:[0,0,1] op_sel_hi:[0,1,0]
	v_pk_fma_f32 v[90:91], v[90:91], v[70:71], v[118:119] op_sel:[0,0,1] op_sel_hi:[0,1,0] neg_lo:[0,0,1] neg_hi:[0,0,1]
	v_pk_mul_f32 v[118:119], v[130:131], v[64:65] op_sel_hi:[0,1]
	v_mov_b32_e32 v91, v121
	v_pk_fma_f32 v[120:121], v[108:109], v[64:65], v[118:119] op_sel:[0,0,1] op_sel_hi:[0,1,0]
	v_pk_fma_f32 v[118:119], v[108:109], v[64:65], v[118:119] op_sel:[0,0,1] op_sel_hi:[0,1,0] neg_lo:[0,0,1] neg_hi:[0,0,1]
	v_mov_b32_e32 v119, v121
	v_pk_mul_f32 v[120:121], v[126:127], v[66:67] op_sel_hi:[0,1]
	v_pk_fma_f32 v[124:125], v[128:129], v[66:67], v[120:121] op_sel:[0,0,1] op_sel_hi:[0,1,0]
	v_pk_fma_f32 v[120:121], v[128:129], v[66:67], v[120:121] op_sel:[0,0,1] op_sel_hi:[0,1,0] neg_lo:[0,0,1] neg_hi:[0,0,1]
	v_mov_b32_e32 v121, v125
	v_pk_add_f32 v[124:125], v[82:83], v[120:121]
	v_pk_add_f32 v[82:83], v[82:83], v[120:121] neg_lo:[0,1] neg_hi:[0,1]
	v_pk_add_f32 v[120:121], v[90:91], v[118:119]
	v_pk_add_f32 v[126:127], v[116:117], v[106:107]
	v_pk_add_f32 v[128:129], v[106:107], v[116:117] neg_lo:[0,1] neg_hi:[0,1]
	v_pk_add_f32 v[106:107], v[120:121], v[124:125]
	v_pk_add_f32 v[130:131], v[120:121], v[124:125] neg_lo:[0,1] neg_hi:[0,1]
	v_pk_add_f32 v[132:133], v[126:127], v[120:121] neg_lo:[0,1] neg_hi:[0,1]
	v_mov_b32_e32 v120, v126
	v_mov_b32_e32 v121, v107
	;; [unrolled: 1-line block ×3, first 2 shown]
	v_pk_add_f32 v[90:91], v[90:91], v[118:119] neg_lo:[0,1] neg_hi:[0,1]
	v_pk_add_f32 v[120:121], v[120:121], v[106:107]
	v_pk_add_f32 v[116:117], v[128:129], v[90:91] op_sel:[1,1] op_sel_hi:[0,0]
	v_pk_add_f32 v[106:107], v[80:81], v[120:121]
	v_mov_b32_e32 v111, v144
	v_mov_b32_e32 v115, v146
	;; [unrolled: 1-line block ×6, first 2 shown]
	v_add_f32_e32 v85, v142, v148
	v_pk_add_f32 v[118:119], v[128:129], v[90:91] op_sel:[1,1] op_sel_hi:[0,0] neg_lo:[0,1] neg_hi:[0,1]
	v_pk_add_f32 v[134:135], v[116:117], v[82:83] op_sel:[0,1] op_sel_hi:[1,0]
	v_pk_fma_f32 v[140:141], v[120:121], s[24:25], v[106:107] op_sel_hi:[1,0,1] neg_lo:[1,0,0] neg_hi:[1,0,0]
	v_pk_add_f32 v[116:117], v[142:143], v[148:149] neg_lo:[0,1] neg_hi:[0,1]
	v_pk_add_f32 v[120:121], v[110:111], v[114:115]
	v_pk_add_f32 v[142:143], v[92:93], v[108:109]
	v_mov_b32_e32 v108, v109
	v_mov_b32_e32 v109, v114
	;; [unrolled: 1-line block ×5, first 2 shown]
	v_add_f32_e32 v112, v145, v147
	v_pk_mul_f32 v[136:137], v[118:119], s[28:29] op_sel_hi:[1,0]
	v_pk_add_f32 v[118:119], v[144:145], v[146:147] neg_lo:[0,1] neg_hi:[0,1]
	v_pk_add_f32 v[92:93], v[108:109], v[92:93] neg_lo:[0,1] neg_hi:[0,1]
	v_mov_b32_e32 v113, v121
	v_mov_b32_e32 v84, v142
	v_pk_add_f32 v[110:111], v[112:113], v[84:85] neg_lo:[0,1] neg_hi:[0,1]
	v_mov_b32_e32 v84, v120
	v_mov_b32_e32 v113, v143
	;; [unrolled: 1-line block ×6, first 2 shown]
	v_pk_mul_f32 v[80:81], v[132:133], s[18:19] op_sel_hi:[1,0]
	v_add_f32_e32 v108, v112, v142
	v_add_f32_e32 v0, v121, v85
	v_pk_add_f32 v[84:85], v[84:85], v[112:113] neg_lo:[0,1] neg_hi:[0,1]
	v_pk_add_f32 v[112:113], v[142:143], v[120:121] neg_lo:[0,1] neg_hi:[0,1]
	v_pk_add_f32 v[114:115], v[92:93], v[118:119]
	v_pk_add_f32 v[144:145], v[144:145], v[146:147] neg_lo:[0,1] neg_hi:[0,1]
	v_mov_b32_e32 v146, v116
	v_mov_b32_e32 v93, v119
	s_mov_b32 s19, s14
	s_mov_b32 s15, s18
	v_pk_add_f32 v[92:93], v[146:147], v[92:93] neg_lo:[0,1] neg_hi:[0,1]
	v_pk_add_f32 v[118:119], v[118:119], v[116:117] neg_lo:[0,1] neg_hi:[0,1]
	v_mov_b32_e32 v109, v143
	v_mov_b32_e32 v121, v0
	v_pk_add_f32 v[114:115], v[114:115], v[116:117]
	v_pk_mul_f32 v[84:85], v[84:85], s[18:19]
	v_pk_mul_f32 v[116:117], v[112:113], s[14:15]
	s_mov_b32 s23, s28
	s_mov_b32 s29, s22
	v_pk_add_f32 v[108:109], v[108:109], v[120:121]
	v_pk_mul_f32 v[120:121], v[92:93], s[22:23]
	v_pk_mul_f32 v[142:143], v[144:145], s[28:29]
	v_mov_b32_e32 v144, v84
	v_mov_b32_e32 v145, v117
	;; [unrolled: 1-line block ×3, first 2 shown]
	v_pk_add_f32 v[96:97], v[96:97], v[108:109]
	v_pk_fma_f32 v[112:113], v[112:113], s[14:15], v[84:85]
	v_pk_fma_f32 v[144:145], v[110:111], s[20:21], v[144:145] op_sel_hi:[1,0,1] neg_lo:[0,0,1] neg_hi:[0,0,1]
	v_pk_fma_f32 v[84:85], v[110:111], s[20:21], v[116:117] op_sel_hi:[1,0,1] neg_lo:[1,0,1] neg_hi:[1,0,1]
	v_mov_b32_e32 v110, v142
	v_mov_b32_e32 v111, v121
	;; [unrolled: 1-line block ×3, first 2 shown]
	v_pk_fma_f32 v[108:109], v[108:109], s[24:25], v[96:97] op_sel_hi:[1,0,1] neg_lo:[1,0,0] neg_hi:[1,0,0]
	v_pk_fma_f32 v[110:111], v[118:119], s[26:27], v[110:111] op_sel_hi:[1,0,1] neg_lo:[0,0,1] neg_hi:[0,0,1]
	;; [unrolled: 1-line block ×3, first 2 shown]
	v_pk_fma_f32 v[92:93], v[92:93], s[22:23], v[142:143]
	v_pk_add_f32 v[142:143], v[112:113], v[108:109]
	v_pk_add_f32 v[118:119], v[144:145], v[108:109]
	;; [unrolled: 1-line block ×3, first 2 shown]
	v_pk_fma_f32 v[108:109], v[114:115], s[0:1], v[110:111] op_sel_hi:[1,0,1]
	v_pk_fma_f32 v[110:111], v[114:115], s[0:1], v[116:117] op_sel_hi:[1,0,1]
	;; [unrolled: 1-line block ×3, first 2 shown]
	v_pk_add_f32 v[116:117], v[84:85], v[110:111]
	v_pk_add_f32 v[114:115], v[84:85], v[110:111] neg_lo:[0,1] neg_hi:[0,1]
	v_pk_add_f32 v[84:85], v[118:119], v[108:109] neg_lo:[0,1] neg_hi:[0,1]
	v_pk_add_f32 v[120:121], v[118:119], v[108:109]
	v_pk_add_f32 v[90:91], v[90:91], v[82:83] op_sel:[1,1] op_sel_hi:[0,0] neg_lo:[0,1] neg_hi:[0,1]
	v_mov_b32_e32 v118, v84
	v_mov_b32_e32 v119, v121
	;; [unrolled: 1-line block ×3, first 2 shown]
	v_pk_add_f32 v[84:85], v[142:143], v[92:93] neg_lo:[0,1] neg_hi:[0,1]
	v_pk_add_f32 v[110:111], v[142:143], v[92:93]
	v_pk_add_f32 v[92:93], v[124:125], v[126:127] neg_lo:[0,1] neg_hi:[0,1]
	v_pk_mul_f32 v[138:139], v[90:91], s[26:27] op_sel_hi:[1,0]
	v_pk_add_f32 v[82:83], v[82:83], v[128:129] op_sel:[1,1] op_sel_hi:[0,0] neg_lo:[0,1] neg_hi:[0,1]
	v_pk_mul_f32 v[92:93], v[92:93], s[14:15] op_sel_hi:[1,0]
	v_pk_fma_f32 v[124:125], v[82:83], s[22:23], v[136:137] op_sel_hi:[1,0,1]
	v_pk_fma_f32 v[108:109], v[132:133], s[18:19], v[92:93] op_sel_hi:[1,0,1]
	v_pk_fma_f32 v[92:93], v[130:131], s[20:21], v[92:93] op_sel_hi:[1,0,1] neg_lo:[1,0,1] neg_hi:[1,0,1]
	v_pk_fma_f32 v[82:83], v[82:83], s[22:23], v[138:139] op_sel_hi:[1,0,1] neg_lo:[1,0,1] neg_hi:[1,0,1]
	;; [unrolled: 1-line block ×4, first 2 shown]
	v_pk_add_f32 v[92:93], v[92:93], v[140:141]
	v_pk_fma_f32 v[126:127], v[134:135], s[0:1], v[82:83] op_sel_hi:[1,0,1]
	v_pk_add_f32 v[80:81], v[80:81], v[140:141]
	v_pk_fma_f32 v[90:91], v[134:135], s[0:1], v[90:91] op_sel_hi:[1,0,1]
	v_pk_fma_f32 v[124:125], v[134:135], s[0:1], v[124:125] op_sel_hi:[1,0,1]
	v_pk_add_f32 v[134:135], v[92:93], v[126:127]
	v_pk_add_f32 v[82:83], v[92:93], v[126:127] neg_lo:[0,1] neg_hi:[0,1]
	v_pk_add_f32 v[108:109], v[108:109], v[140:141]
	v_mov_b32_e32 v135, v83
	v_pk_add_f32 v[82:83], v[80:81], v[90:91] neg_lo:[0,1] neg_hi:[0,1]
	v_pk_add_f32 v[140:141], v[80:81], v[90:91]
	v_accvgpr_write_b32 a22, v158
	v_accvgpr_write_b32 a30, v162
	;; [unrolled: 1-line block ×7, first 2 shown]
	v_pk_add_f32 v[142:143], v[108:109], v[124:125]
	v_pk_add_f32 v[148:149], v[108:109], v[124:125] neg_lo:[0,1] neg_hi:[0,1]
	v_mov_b32_e32 v141, v83
	v_mov_b32_e32 v82, v80
	;; [unrolled: 1-line block ×7, first 2 shown]
	v_accvgpr_write_b32 a23, v159
	v_accvgpr_write_b32 a24, v160
	;; [unrolled: 1-line block ×19, first 2 shown]
	v_mov_b32_e32 v112, v116
	v_mov_b32_e32 v113, v115
	;; [unrolled: 1-line block ×7, first 2 shown]
	v_pk_add_f32 v[138:139], v[82:83], v[124:125] neg_lo:[0,1] neg_hi:[0,1]
	v_pk_add_f32 v[144:145], v[126:127], v[92:93]
	v_mov_b32_e32 v111, v85
	ds_write2_b64 v8, v[86:87], v[96:97] offset1:119
	ds_write2_b64 v4, v[88:89], v[110:111] offset0:127 offset1:246
	ds_write2_b64 v2, v[98:99], v[112:113] offset0:126 offset1:245
	;; [unrolled: 1-line block ×6, first 2 shown]
	s_and_saveexec_b64 s[0:1], s[2:3]
	s_cbranch_execz .LBB0_11
; %bb.10:
	v_add_u32_e32 v0, 0x770, v8
	ds_write2_b64 v0, v[106:107], v[108:109] offset1:255
	v_mov_b32_e32 v0, v138
	v_mov_b32_e32 v1, v144
	v_add_u32_e32 v2, 0x1760, v8
	ds_write2_b64 v2, v[134:135], v[0:1] offset1:255
	v_mov_b32_e32 v0, v139
	v_mov_b32_e32 v1, v145
	v_add_u32_e32 v2, 0x2750, v8
	v_mov_b32_e32 v149, v143
	ds_write2_b64 v2, v[140:141], v[0:1] offset1:255
	ds_write_b64 v8, v[148:149] offset:14144
.LBB0_11:
	s_or_b64 exec, exec, s[0:1]
	s_waitcnt lgkmcnt(0)
	s_barrier
	s_and_saveexec_b64 s[0:1], s[6:7]
	s_cbranch_execz .LBB0_13
; %bb.12:
	v_mov_b32_e32 v123, 0
	v_lshl_add_u64 v[4:5], s[12:13], 0, v[122:123]
	v_add_co_u32_e32 v2, vcc, 0x3000, v4
	ds_read_b64 v[0:1], v8
	s_nop 0
	v_addc_co_u32_e32 v3, vcc, 0, v5, vcc
	global_load_dwordx2 v[2:3], v[2:3], off offset:1992
	s_mov_b64 s[14:15], 0x37c8
	v_lshl_add_u64 v[6:7], v[4:5], 0, s[14:15]
	s_movk_i32 s14, 0x4000
	s_waitcnt vmcnt(0) lgkmcnt(0)
	v_mul_f32_e32 v9, v1, v3
	v_mul_f32_e32 v81, v0, v3
	v_fma_f32 v80, v0, v2, -v9
	v_fmac_f32_e32 v81, v1, v2
	ds_write_b64 v8, v[80:81]
	global_load_dwordx2 v[80:81], v[6:7], off offset:840
	ds_read2_b64 v[0:3], v122 offset0:105 offset1:210
	s_waitcnt vmcnt(0) lgkmcnt(0)
	v_mul_f32_e32 v9, v1, v81
	v_mul_f32_e32 v85, v0, v81
	v_fma_f32 v84, v0, v80, -v9
	v_fmac_f32_e32 v85, v1, v80
	global_load_dwordx2 v[0:1], v[6:7], off offset:1680
	s_waitcnt vmcnt(0)
	v_mul_f32_e32 v9, v3, v1
	v_mul_f32_e32 v81, v2, v1
	v_fma_f32 v80, v2, v0, -v9
	v_fmac_f32_e32 v81, v3, v0
	ds_write2_b64 v122, v[84:85], v[80:81] offset0:105 offset1:210
	global_load_dwordx2 v[80:81], v[6:7], off offset:2520
	v_add_u32_e32 v9, 0x800, v122
	ds_read2_b64 v[0:3], v9 offset0:59 offset1:164
	s_waitcnt vmcnt(0) lgkmcnt(0)
	v_mul_f32_e32 v10, v1, v81
	v_mul_f32_e32 v85, v0, v81
	v_fma_f32 v84, v0, v80, -v10
	v_fmac_f32_e32 v85, v1, v80
	global_load_dwordx2 v[0:1], v[6:7], off offset:3360
	s_waitcnt vmcnt(0)
	v_mul_f32_e32 v6, v3, v1
	v_mul_f32_e32 v7, v2, v1
	v_fma_f32 v6, v2, v0, -v6
	v_fmac_f32_e32 v7, v3, v0
	ds_write2_b64 v9, v[84:85], v[6:7] offset0:59 offset1:164
	v_add_co_u32_e32 v6, vcc, s14, v4
	v_add_u32_e32 v9, 0x1000, v122
	s_nop 0
	v_addc_co_u32_e32 v7, vcc, 0, v5, vcc
	global_load_dwordx2 v[80:81], v[6:7], off offset:2096
	ds_read2_b64 v[0:3], v9 offset0:13 offset1:118
	s_movk_i32 s14, 0x5000
	s_waitcnt vmcnt(0) lgkmcnt(0)
	v_mul_f32_e32 v10, v1, v81
	v_mul_f32_e32 v85, v0, v81
	v_fma_f32 v84, v0, v80, -v10
	v_fmac_f32_e32 v85, v1, v80
	global_load_dwordx2 v[0:1], v[6:7], off offset:2936
	s_waitcnt vmcnt(0)
	v_mul_f32_e32 v10, v3, v1
	global_load_dwordx2 v[6:7], v[6:7], off offset:3776
	v_mul_f32_e32 v81, v2, v1
	v_fma_f32 v80, v2, v0, -v10
	v_fmac_f32_e32 v81, v3, v0
	ds_write2_b64 v9, v[84:85], v[80:81] offset0:13 offset1:118
	v_add_u32_e32 v9, 0x1400, v122
	ds_read2_b64 v[0:3], v9 offset0:95 offset1:200
	s_waitcnt vmcnt(0) lgkmcnt(0)
	v_mul_f32_e32 v10, v1, v7
	v_mul_f32_e32 v81, v0, v7
	v_fma_f32 v80, v0, v6, -v10
	v_fmac_f32_e32 v81, v1, v6
	v_add_co_u32_e32 v6, vcc, s14, v4
	s_movk_i32 s14, 0x6000
	s_nop 0
	v_addc_co_u32_e32 v7, vcc, 0, v5, vcc
	global_load_dwordx2 v[0:1], v[6:7], off offset:520
	v_add_co_u32_e32 v4, vcc, s14, v4
	s_waitcnt vmcnt(0)
	v_mul_f32_e32 v10, v3, v1
	v_mul_f32_e32 v85, v2, v1
	v_fma_f32 v84, v2, v0, -v10
	v_fmac_f32_e32 v85, v3, v0
	ds_write2_b64 v9, v[80:81], v[84:85] offset0:95 offset1:200
	global_load_dwordx2 v[80:81], v[6:7], off offset:1360
	v_add_u32_e32 v9, 0x1c00, v122
	ds_read2_b64 v[0:3], v9 offset0:49 offset1:154
	v_addc_co_u32_e32 v5, vcc, 0, v5, vcc
	s_waitcnt vmcnt(0) lgkmcnt(0)
	v_mul_f32_e32 v10, v1, v81
	v_mul_f32_e32 v85, v0, v81
	v_fma_f32 v84, v0, v80, -v10
	v_fmac_f32_e32 v85, v1, v80
	global_load_dwordx2 v[0:1], v[6:7], off offset:2200
	s_waitcnt vmcnt(0)
	v_mul_f32_e32 v10, v3, v1
	v_mul_f32_e32 v81, v2, v1
	v_fma_f32 v80, v2, v0, -v10
	v_fmac_f32_e32 v81, v3, v0
	ds_write2_b64 v9, v[84:85], v[80:81] offset0:49 offset1:154
	global_load_dwordx2 v[80:81], v[6:7], off offset:3040
	v_add_u32_e32 v9, 0x2000, v122
	ds_read2_b64 v[0:3], v9 offset0:131 offset1:236
	s_waitcnt vmcnt(0) lgkmcnt(0)
	v_mul_f32_e32 v10, v1, v81
	v_mul_f32_e32 v85, v0, v81
	v_fma_f32 v84, v0, v80, -v10
	v_fmac_f32_e32 v85, v1, v80
	global_load_dwordx2 v[0:1], v[6:7], off offset:3880
	s_waitcnt vmcnt(0)
	v_mul_f32_e32 v6, v3, v1
	v_mul_f32_e32 v7, v2, v1
	v_fma_f32 v6, v2, v0, -v6
	v_fmac_f32_e32 v7, v3, v0
	ds_write2_b64 v9, v[84:85], v[6:7] offset0:131 offset1:236
	global_load_dwordx2 v[6:7], v[4:5], off offset:624
	v_add_u32_e32 v9, 0x2800, v122
	ds_read2_b64 v[0:3], v9 offset0:85 offset1:190
	;; [unrolled: 15-line block ×3, first 2 shown]
	s_waitcnt vmcnt(0) lgkmcnt(0)
	v_mul_f32_e32 v10, v1, v7
	v_mul_f32_e32 v81, v0, v7
	v_fma_f32 v80, v0, v6, -v10
	v_fmac_f32_e32 v81, v1, v6
	global_load_dwordx2 v[0:1], v[4:5], off offset:3144
	s_waitcnt vmcnt(0)
	v_mul_f32_e32 v4, v3, v1
	v_mul_f32_e32 v5, v2, v1
	v_fma_f32 v4, v2, v0, -v4
	v_fmac_f32_e32 v5, v3, v0
	ds_write2_b64 v9, v[80:81], v[4:5] offset0:39 offset1:144
.LBB0_13:
	s_or_b64 exec, exec, s[0:1]
	s_waitcnt lgkmcnt(0)
	s_barrier
	s_and_saveexec_b64 s[0:1], s[6:7]
	s_cbranch_execz .LBB0_15
; %bb.14:
	v_add_u32_e32 v0, 0x400, v8
	ds_read2_b64 v[98:101], v0 offset0:82 offset1:187
	v_add_u32_e32 v0, 0xc00, v8
	ds_read2_b64 v[102:105], v0 offset0:36 offset1:141
	;; [unrolled: 2-line block ×6, first 2 shown]
	v_add_u32_e32 v0, 0x2c00, v8
	ds_read2_b64 v[86:89], v8 offset1:105
	ds_read2_b64 v[106:109], v0 offset0:62 offset1:167
	ds_read_b64 v[134:135], v8 offset:13440
.LBB0_15:
	s_or_b64 exec, exec, s[0:1]
	s_waitcnt lgkmcnt(1)
	v_pk_add_f32 v[0:1], v[98:99], v[108:109] neg_lo:[0,1] neg_hi:[0,1]
	v_pk_add_f32 v[198:199], v[98:99], v[108:109]
	v_mov_b32_e32 v153, v0
	v_mov_b32_e32 v152, v198
	v_mov_b32_e32 v198, v1
	v_pk_add_f32 v[0:1], v[100:101], v[106:107] neg_lo:[0,1] neg_hi:[0,1]
	v_pk_add_f32 v[200:201], v[100:101], v[106:107]
	v_mov_b32_e32 v155, v0
	v_mov_b32_e32 v154, v200
	v_mov_b32_e32 v200, v1
	;; [unrolled: 5-line block ×5, first 2 shown]
	v_pk_add_f32 v[0:1], v[96:97], v[118:119] neg_lo:[0,1] neg_hi:[0,1]
	v_pk_add_f32 v[208:209], v[96:97], v[118:119]
	s_waitcnt lgkmcnt(0)
	v_pk_add_f32 v[194:195], v[134:135], v[88:89]
	v_pk_add_f32 v[34:35], v[88:89], v[134:135] neg_lo:[0,1] neg_hi:[0,1]
	v_mov_b32_e32 v162, v208
	v_mov_b32_e32 v163, v0
	;; [unrolled: 1-line block ×3, first 2 shown]
	v_pk_add_f32 v[0:1], v[110:111], v[112:113] neg_lo:[0,1] neg_hi:[0,1]
	v_pk_add_f32 v[210:211], v[110:111], v[112:113]
	s_mov_b32 s40, 0xbeb8f4ab
	v_mov_b32_e32 v164, v210
	v_mov_b32_e32 v165, v0
	;; [unrolled: 1-line block ×5, first 2 shown]
	s_mov_b32 s41, 0x3f6eb680
	s_mov_b32 s54, 0xbf2c7751
	v_pk_mul_f32 v[126:127], v[0:1], s[40:41]
	v_mov_b32_e32 v224, v194
	v_mov_b32_e32 v225, v34
	s_mov_b32 s0, s41
	s_mov_b32 s1, s40
	;; [unrolled: 1-line block ×3, first 2 shown]
	v_pk_fma_f32 v[2:3], v[224:225], s[0:1], v[126:127] neg_lo:[0,0,1] neg_hi:[0,0,1]
	v_pk_fma_f32 v[132:133], v[224:225], s[0:1], v[126:127]
	v_pk_mul_f32 v[212:213], v[198:199], s[54:55]
	s_mov_b32 s24, s55
	s_mov_b32 s25, s54
	;; [unrolled: 1-line block ×3, first 2 shown]
	v_mov_b32_e32 v3, v133
	v_pk_fma_f32 v[4:5], v[152:153], s[24:25], v[212:213] neg_lo:[0,0,1] neg_hi:[0,0,1]
	v_pk_fma_f32 v[214:215], v[152:153], s[24:25], v[212:213]
	s_mov_b32 s63, 0x3ee437d1
	v_pk_add_f32 v[2:3], v[86:87], v[2:3]
	v_mov_b32_e32 v5, v215
	v_pk_mul_f32 v[216:217], v[200:201], s[62:63]
	s_mov_b32 s18, s63
	s_mov_b32 s19, s62
	s_mov_b32 s50, 0xbf7ee86f
	v_pk_add_f32 v[2:3], v[4:5], v[2:3]
	v_pk_fma_f32 v[4:5], v[154:155], s[18:19], v[216:217] neg_lo:[0,0,1] neg_hi:[0,0,1]
	v_pk_fma_f32 v[218:219], v[154:155], s[18:19], v[216:217]
	s_mov_b32 s51, 0x3dbcf732
	v_mov_b32_e32 v5, v219
	v_pk_mul_f32 v[220:221], v[202:203], s[50:51]
	s_mov_b32 s14, s51
	s_mov_b32 s15, s50
	s_mov_b32 s44, 0xbf763a35
	v_pk_add_f32 v[2:3], v[4:5], v[2:3]
	v_pk_fma_f32 v[4:5], v[156:157], s[14:15], v[220:221] neg_lo:[0,0,1] neg_hi:[0,0,1]
	v_pk_fma_f32 v[222:223], v[156:157], s[14:15], v[220:221]
	s_mov_b32 s45, 0xbe8c1d8e
	;; [unrolled: 9-line block ×4, first 2 shown]
	v_mov_b32_e32 v5, v233
	v_pk_mul_f32 v[234:235], v[208:209], s[48:49]
	s_mov_b32 s20, s49
	s_mov_b32 s21, s48
	v_pk_add_f32 v[2:3], v[4:5], v[2:3]
	v_pk_fma_f32 v[4:5], v[162:163], s[20:21], v[234:235] neg_lo:[0,0,1] neg_hi:[0,0,1]
	v_pk_fma_f32 v[236:237], v[162:163], s[20:21], v[234:235]
	v_pk_mul_f32 v[242:243], v[0:1], s[54:55]
	v_mov_b32_e32 v5, v237
	v_pk_fma_f32 v[0:1], v[224:225], s[24:25], v[242:243] neg_lo:[0,0,1] neg_hi:[0,0,1]
	v_pk_fma_f32 v[238:239], v[224:225], s[24:25], v[242:243]
	v_pk_mul_f32 v[246:247], v[198:199], s[50:51]
	v_pk_add_f32 v[2:3], v[4:5], v[2:3]
	v_mov_b32_e32 v1, v239
	v_pk_fma_f32 v[4:5], v[152:153], s[14:15], v[246:247] neg_lo:[0,0,1] neg_hi:[0,0,1]
	v_pk_fma_f32 v[244:245], v[152:153], s[14:15], v[246:247]
	s_mov_b32 s52, 0xbe3c28d5
	v_pk_add_f32 v[0:1], v[86:87], v[0:1]
	v_mov_b32_e32 v5, v245
	v_pk_mul_f32 v[250:251], v[200:201], s[46:47]
	s_mov_b32 s53, 0xbf7ba420
	v_pk_add_f32 v[0:1], v[4:5], v[0:1]
	v_pk_fma_f32 v[4:5], v[154:155], s[22:23], v[250:251] neg_lo:[0,0,1] neg_hi:[0,0,1]
	v_pk_fma_f32 v[248:249], v[154:155], s[22:23], v[250:251]
	s_mov_b32 s26, s53
	s_mov_b32 s27, s52
	v_mov_b32_e32 v5, v249
	v_pk_mul_f32 v[254:255], v[202:203], s[52:53]
	v_pk_add_f32 v[0:1], v[4:5], v[0:1]
	v_pk_fma_f32 v[4:5], v[156:157], s[26:27], v[254:255] neg_lo:[0,0,1] neg_hi:[0,0,1]
	v_pk_fma_f32 v[252:253], v[156:157], s[26:27], v[254:255]
	s_mov_b32 s70, 0x3f06c442
	s_mov_b32 s71, s49
	v_mov_b32_e32 v5, v253
	v_pk_mul_f32 v[240:241], v[204:205], s[70:71]
	s_mov_b32 s34, s49
	s_mov_b32 s35, s70
	v_pk_add_f32 v[0:1], v[4:5], v[0:1]
	v_pk_fma_f32 v[4:5], v[158:159], s[34:35], v[240:241] neg_lo:[0,0,1] neg_hi:[0,0,1]
	v_pk_fma_f32 v[130:131], v[158:159], s[34:35], v[240:241]
	s_mov_b32 s66, 0x3f763a35
	s_mov_b32 s67, s45
	v_mov_b32_e32 v5, v131
	s_mov_b32 s28, s45
	s_mov_b32 s29, s66
	v_pk_mul_f32 v[128:129], v[206:207], s[66:67]
	v_pk_add_f32 v[0:1], v[4:5], v[0:1]
	v_pk_fma_f32 v[4:5], v[160:161], s[28:29], v[128:129] neg_lo:[0,0,1] neg_hi:[0,0,1]
	v_pk_fma_f32 v[92:93], v[160:161], s[28:29], v[128:129]
	s_mov_b32 s60, 0x3f65296c
	s_mov_b32 s61, s63
	v_mov_b32_e32 v5, v93
	s_mov_b32 s38, s63
	s_mov_b32 s39, s60
	v_pk_mul_f32 v[84:85], v[208:209], s[60:61]
	v_pk_add_f32 v[0:1], v[4:5], v[0:1]
	v_pk_fma_f32 v[4:5], v[162:163], s[38:39], v[84:85] neg_lo:[0,0,1] neg_hi:[0,0,1]
	v_pk_fma_f32 v[124:125], v[162:163], s[38:39], v[84:85]
	v_pk_mul_f32 v[6:7], v[210:211], s[52:53]
	v_mov_b32_e32 v5, v125
	v_pk_add_f32 v[90:91], v[4:5], v[0:1]
	v_mov_b32_e32 v1, v44
	v_mov_b32_e32 v0, v44
	v_accvgpr_write_b32 a55, v1
	v_accvgpr_write_b32 a54, v0
	v_mov_b32_e32 v1, v40
	v_mov_b32_e32 v0, v40
	v_accvgpr_write_b32 a51, v1
	v_accvgpr_write_b32 a50, v0
	v_pk_fma_f32 v[0:1], v[164:165], s[26:27], v[6:7] neg_lo:[0,0,1] neg_hi:[0,0,1]
	v_pk_fma_f32 v[4:5], v[164:165], s[26:27], v[6:7]
	s_mov_b32 s64, 0x3eb8f4ab
	v_mov_b32_e32 v1, v5
	s_mov_b32 s65, s41
	v_pk_add_f32 v[136:137], v[0:1], v[2:3]
	s_mov_b32 s42, s41
	s_mov_b32 s43, s64
	v_pk_mul_f32 v[2:3], v[210:211], s[64:65]
	v_mov_b32_e32 v192, v28
	v_pk_fma_f32 v[0:1], v[164:165], s[42:43], v[2:3] neg_lo:[0,0,1] neg_hi:[0,0,1]
	v_pk_fma_f32 v[10:11], v[164:165], s[42:43], v[2:3]
	v_mov_b32_e32 v193, v28
	v_mov_b32_e32 v1, v11
	v_pk_add_f32 v[32:33], v[0:1], v[90:91]
	v_mov_b32_e32 v28, v29
	v_accvgpr_write_b32 a47, v33
	v_mov_b32_e32 v190, v30
	v_mov_b32_e32 v191, v30
	;; [unrolled: 1-line block ×42, first 2 shown]
	v_accvgpr_write_b32 a58, v54
	v_accvgpr_write_b32 a59, v54
	v_mov_b32_e32 v54, v55
	v_mov_b32_e32 v146, v48
	;; [unrolled: 1-line block ×4, first 2 shown]
	v_accvgpr_write_b32 a56, v50
	v_accvgpr_write_b32 a57, v50
	v_mov_b32_e32 v50, v51
	v_mov_b32_e32 v44, v45
	v_accvgpr_write_b32 a52, v46
	v_accvgpr_write_b32 a53, v46
	v_mov_b32_e32 v46, v47
	v_mov_b32_e32 v40, v41
	v_accvgpr_write_b32 a48, v42
	v_accvgpr_write_b32 a49, v42
	v_mov_b32_e32 v42, v43
	v_accvgpr_write_b32 a46, v32
	s_barrier
	s_and_saveexec_b64 s[36:37], s[6:7]
	s_cbranch_execz .LBB0_17
; %bb.16:
	v_pk_mul_f32 v[0:1], v[224:225], s[0:1]
	v_pk_mul_f32 v[80:81], v[152:153], s[24:25]
	v_pk_add_f32 v[0:1], v[126:127], v[0:1] neg_lo:[0,1] neg_hi:[0,1]
	v_pk_mul_f32 v[82:83], v[154:155], s[18:19]
	v_mov_b32_e32 v133, v1
	v_pk_add_f32 v[80:81], v[212:213], v[80:81] neg_lo:[0,1] neg_hi:[0,1]
	v_accvgpr_write_b32 a0, v196
	v_accvgpr_write_b32 a1, v197
	v_pk_mul_f32 v[196:197], v[156:157], s[14:15]
	v_pk_add_f32 v[0:1], v[86:87], v[132:133]
	v_mov_b32_e32 v215, v81
	v_pk_add_f32 v[80:81], v[216:217], v[82:83] neg_lo:[0,1] neg_hi:[0,1]
	v_pk_mul_f32 v[90:91], v[158:159], s[30:31]
	v_pk_add_f32 v[0:1], v[214:215], v[0:1]
	v_mov_b32_e32 v219, v81
	v_pk_add_f32 v[80:81], v[220:221], v[196:197] neg_lo:[0,1] neg_hi:[0,1]
	;; [unrolled: 4-line block ×5, first 2 shown]
	v_pk_mul_f32 v[32:33], v[154:155], s[22:23]
	v_accvgpr_read_b32 v5, a20
	v_pk_add_f32 v[0:1], v[232:233], v[0:1]
	v_mov_b32_e32 v237, v65
	v_pk_add_f32 v[6:7], v[6:7], v[68:69] neg_lo:[0,1] neg_hi:[0,1]
	v_pk_mul_f32 v[70:71], v[224:225], s[24:25]
	v_pk_mul_f32 v[224:225], v[152:153], s[14:15]
	v_accvgpr_write_b32 a65, v33
	v_lshlrev_b32_e32 v9, 3, v5
	v_pk_add_f32 v[0:1], v[236:237], v[0:1]
	v_mov_b32_e32 v5, v7
	v_accvgpr_write_b32 a64, v32
	v_pk_add_f32 v[88:89], v[88:89], v[86:87]
	v_pk_add_f32 v[0:1], v[4:5], v[0:1]
	v_pk_add_f32 v[4:5], v[246:247], v[224:225] neg_lo:[0,1] neg_hi:[0,1]
	v_pk_mul_f32 v[32:33], v[156:157], s[26:27]
	v_pk_add_f32 v[88:89], v[98:99], v[88:89]
	v_mov_b32_e32 v245, v5
	v_accvgpr_read_b32 v4, a64
	v_accvgpr_write_b32 a63, v33
	v_pk_add_f32 v[88:89], v[100:101], v[88:89]
	v_accvgpr_read_b32 v5, a65
	v_accvgpr_write_b32 a62, v32
	v_pk_add_f32 v[88:89], v[102:103], v[88:89]
	v_pk_add_f32 v[4:5], v[250:251], v[4:5] neg_lo:[0,1] neg_hi:[0,1]
	v_pk_mul_f32 v[32:33], v[158:159], s[34:35]
	v_pk_add_f32 v[88:89], v[104:105], v[88:89]
	v_mov_b32_e32 v249, v5
	v_accvgpr_read_b32 v4, a62
	v_accvgpr_write_b32 a61, v33
	v_pk_add_f32 v[88:89], v[94:95], v[88:89]
	v_accvgpr_read_b32 v5, a63
	v_accvgpr_write_b32 a60, v32
	;; [unrolled: 10-line block ×4, first 2 shown]
	v_pk_add_f32 v[88:89], v[116:117], v[88:89]
	v_pk_add_f32 v[4:5], v[128:129], v[4:5] neg_lo:[0,1] neg_hi:[0,1]
	v_pk_mul_f32 v[32:33], v[164:165], s[42:43]
	v_accvgpr_write_b32 a38, v136
	v_pk_add_f32 v[88:89], v[106:107], v[88:89]
	v_mov_b32_e32 v93, v5
	v_accvgpr_read_b32 v4, a42
	v_accvgpr_write_b32 a39, v137
	v_accvgpr_write_b32 a40, v138
	;; [unrolled: 1-line block ×3, first 2 shown]
	v_pk_mul_f32 v[136:137], v[34:35], s[62:63] op_sel_hi:[1,0]
	s_mov_b32 s68, s63
	v_pk_add_f32 v[88:89], v[108:109], v[88:89]
	v_accvgpr_read_b32 v5, a43
	v_pk_add_f32 v[2:3], v[2:3], v[32:33] neg_lo:[0,1] neg_hi:[0,1]
	s_mov_b32 s59, 0x3e3c28d5
	v_pk_add_f32 v[88:89], v[134:135], v[88:89]
	v_pk_add_f32 v[4:5], v[84:85], v[4:5] neg_lo:[0,1] neg_hi:[0,1]
	v_mov_b32_e32 v11, v3
	v_pk_mul_f32 v[66:67], v[198:199], s[46:47]
	s_mov_b32 s56, s59
	s_mov_b32 s57, s53
	v_pk_fma_f32 v[2:3], v[194:195], s[68:69], v[136:137] op_sel:[0,0,1] op_sel_hi:[1,0,0]
	v_pk_fma_f32 v[108:109], v[194:195], s[68:69], v[136:137] op_sel:[0,0,1] op_sel_hi:[1,0,0] neg_lo:[0,0,1] neg_hi:[0,0,1]
	ds_write2_b64 v9, v[88:89], v[0:1] offset1:1
	v_pk_add_f32 v[0:1], v[242:243], v[70:71] neg_lo:[0,1] neg_hi:[0,1]
	v_mov_b32_e32 v125, v5
	v_pk_mul_f32 v[70:71], v[200:201], s[56:57]
	v_accvgpr_write_b32 a27, v3
	v_mov_b32_e32 v3, v109
	v_pk_fma_f32 v[80:81], v[152:153], s[22:23], v[66:67]
	v_pk_fma_f32 v[4:5], v[152:153], s[22:23], v[66:67] neg_lo:[1,0,0] neg_hi:[1,0,0]
	v_accvgpr_write_b32 a69, v67
	v_mov_b32_e32 v239, v1
	s_mov_b32 s58, s53
	v_pk_add_f32 v[2:3], v[86:87], v[2:3]
	v_accvgpr_write_b32 a68, v66
	v_mov_b32_e32 v4, v80
	v_mov_b64_e32 v[66:67], v[70:71]
	v_pk_add_f32 v[0:1], v[86:87], v[238:239]
	s_mov_b32 s57, 0x3f2c7751
	v_pk_add_f32 v[2:3], v[4:5], v[2:3]
	v_pk_fma_f32 v[70:71], v[154:155], s[58:59], v[66:67]
	v_pk_fma_f32 v[4:5], v[154:155], s[58:59], v[66:67] neg_lo:[1,0,0] neg_hi:[1,0,0]
	v_pk_add_f32 v[0:1], v[244:245], v[0:1]
	v_pk_mul_f32 v[64:65], v[202:203], s[66:67]
	s_mov_b32 s72, s57
	s_mov_b32 s73, s55
	v_accvgpr_write_b32 a73, v67
	v_mov_b32_e32 v4, v70
	v_pk_add_f32 v[0:1], v[248:249], v[0:1]
	v_pk_mul_f32 v[68:69], v[204:205], s[72:73]
	v_accvgpr_write_b32 a72, v66
	v_pk_add_f32 v[2:3], v[4:5], v[2:3]
	v_pk_fma_f32 v[66:67], v[156:157], s[28:29], v[64:65]
	v_pk_fma_f32 v[4:5], v[156:157], s[28:29], v[64:65] neg_lo:[1,0,0] neg_hi:[1,0,0]
	v_accvgpr_write_b32 a77, v65
	v_pk_add_f32 v[0:1], v[252:253], v[0:1]
	s_mov_b32 s56, s55
	v_accvgpr_write_b32 a76, v64
	v_mov_b32_e32 v4, v66
	v_mov_b64_e32 v[64:65], v[68:69]
	v_pk_add_f32 v[0:1], v[130:131], v[0:1]
	v_accvgpr_write_b32 a65, v67
	v_pk_add_f32 v[2:3], v[4:5], v[2:3]
	v_pk_fma_f32 v[66:67], v[158:159], s[56:57], v[64:65]
	v_pk_fma_f32 v[4:5], v[158:159], s[56:57], v[64:65] neg_lo:[1,0,0] neg_hi:[1,0,0]
	v_pk_add_f32 v[0:1], v[92:93], v[0:1]
	v_pk_mul_f32 v[32:33], v[206:207], s[40:41]
	v_mov_b32_e32 v4, v66
	v_pk_add_f32 v[0:1], v[124:125], v[0:1]
	v_pk_add_f32 v[2:3], v[4:5], v[2:3]
	v_pk_fma_f32 v[64:65], v[160:161], s[0:1], v[32:33]
	v_pk_fma_f32 v[4:5], v[160:161], s[0:1], v[32:33] neg_lo:[1,0,0] neg_hi:[1,0,0]
	v_pk_add_f32 v[0:1], v[10:11], v[0:1]
	v_pk_mul_f32 v[10:11], v[208:209], s[50:51]
	v_accvgpr_write_b32 a83, v33
	v_mov_b32_e32 v4, v64
	v_accvgpr_write_b32 a82, v32
	v_pk_add_f32 v[2:3], v[4:5], v[2:3]
	v_pk_fma_f32 v[32:33], v[162:163], s[14:15], v[10:11]
	v_pk_fma_f32 v[4:5], v[162:163], s[14:15], v[10:11] neg_lo:[1,0,0] neg_hi:[1,0,0]
	v_pk_mul_f32 v[6:7], v[210:211], s[48:49]
	v_accvgpr_write_b32 a85, v11
	v_mov_b32_e32 v4, v32
	v_accvgpr_write_b32 a84, v10
	v_pk_add_f32 v[2:3], v[4:5], v[2:3]
	v_pk_fma_f32 v[10:11], v[164:165], s[20:21], v[6:7]
	v_pk_fma_f32 v[4:5], v[164:165], s[20:21], v[6:7] neg_lo:[1,0,0] neg_hi:[1,0,0]
	s_mov_b32 s68, s51
	v_mov_b32_e32 v4, v10
	v_pk_add_f32 v[2:3], v[4:5], v[2:3]
	ds_write2_b64 v9, v[0:1], v[2:3] offset0:2 offset1:3
	v_pk_mul_f32 v[0:1], v[34:35], s[50:51] op_sel_hi:[1,0]
	v_pk_mul_f32 v[218:219], v[198:199], s[52:53]
	v_pk_fma_f32 v[2:3], v[194:195], s[68:69], v[0:1] op_sel:[0,0,1] op_sel_hi:[1,0,0]
	v_pk_fma_f32 v[214:215], v[194:195], s[68:69], v[0:1] op_sel:[0,0,1] op_sel_hi:[1,0,0] neg_lo:[0,0,1] neg_hi:[0,0,1]
	v_mov_b32_e32 v0, v2
	v_mov_b32_e32 v109, v3
	;; [unrolled: 1-line block ×3, first 2 shown]
	v_pk_fma_f32 v[4:5], v[152:153], s[26:27], v[218:219]
	v_pk_fma_f32 v[2:3], v[152:153], s[26:27], v[218:219] neg_lo:[1,0,0] neg_hi:[1,0,0]
	v_pk_add_f32 v[0:1], v[86:87], v[0:1]
	v_mov_b32_e32 v2, v4
	v_pk_mul_f32 v[222:223], v[200:201], s[66:67]
	v_accvgpr_write_b32 a89, v5
	v_pk_add_f32 v[0:1], v[2:3], v[0:1]
	v_pk_fma_f32 v[4:5], v[154:155], s[28:29], v[222:223]
	v_pk_fma_f32 v[2:3], v[154:155], s[28:29], v[222:223] neg_lo:[1,0,0] neg_hi:[1,0,0]
	v_pk_mul_f32 v[226:227], v[202:203], s[64:65]
	v_mov_b32_e32 v2, v4
	v_accvgpr_write_b32 a91, v5
	v_pk_add_f32 v[0:1], v[2:3], v[0:1]
	v_pk_fma_f32 v[4:5], v[156:157], s[42:43], v[226:227]
	v_pk_fma_f32 v[2:3], v[156:157], s[42:43], v[226:227] neg_lo:[1,0,0] neg_hi:[1,0,0]
	v_pk_mul_f32 v[230:231], v[204:205], s[62:63]
	v_mov_b32_e32 v2, v4
	v_accvgpr_write_b32 a93, v5
	v_pk_add_f32 v[0:1], v[2:3], v[0:1]
	v_pk_fma_f32 v[4:5], v[158:159], s[18:19], v[230:231]
	v_pk_fma_f32 v[2:3], v[158:159], s[18:19], v[230:231] neg_lo:[1,0,0] neg_hi:[1,0,0]
	v_pk_mul_f32 v[234:235], v[206:207], s[48:49]
	v_mov_b32_e32 v2, v4
	s_mov_b32 s69, 0x3f4c4adb
	v_accvgpr_write_b32 a95, v5
	v_pk_add_f32 v[0:1], v[2:3], v[0:1]
	v_pk_fma_f32 v[4:5], v[160:161], s[20:21], v[234:235]
	v_pk_fma_f32 v[2:3], v[160:161], s[20:21], v[234:235] neg_lo:[1,0,0] neg_hi:[1,0,0]
	s_mov_b32 s74, s69
	s_mov_b32 s75, s47
	v_mov_b32_e32 v2, v4
	s_mov_b32 s68, s47
	v_pk_mul_f32 v[238:239], v[208:209], s[74:75]
	v_accvgpr_write_b32 a97, v5
	v_pk_add_f32 v[0:1], v[2:3], v[0:1]
	v_pk_fma_f32 v[4:5], v[162:163], s[68:69], v[238:239]
	v_pk_fma_f32 v[2:3], v[162:163], s[68:69], v[238:239] neg_lo:[1,0,0] neg_hi:[1,0,0]
	v_pk_mul_f32 v[242:243], v[210:211], s[72:73]
	v_mov_b32_e32 v2, v4
	v_accvgpr_write_b32 a99, v5
	v_pk_add_f32 v[0:1], v[2:3], v[0:1]
	v_pk_fma_f32 v[4:5], v[164:165], s[56:57], v[242:243]
	v_pk_fma_f32 v[2:3], v[164:165], s[56:57], v[242:243] neg_lo:[1,0,0] neg_hi:[1,0,0]
	s_mov_b32 s76, s45
	v_mov_b32_e32 v2, v4
	v_pk_add_f32 v[0:1], v[2:3], v[0:1]
	v_pk_mul_f32 v[2:3], v[34:35], s[44:45] op_sel_hi:[1,0]
	v_accvgpr_write_b32 a101, v5
	v_pk_fma_f32 v[4:5], v[194:195], s[76:77], v[2:3] op_sel:[0,0,1] op_sel_hi:[1,0,0]
	v_pk_fma_f32 v[246:247], v[194:195], s[76:77], v[2:3] op_sel:[0,0,1] op_sel_hi:[1,0,0] neg_lo:[0,0,1] neg_hi:[0,0,1]
	v_pk_mul_f32 v[250:251], v[198:199], s[70:71]
	v_mov_b32_e32 v2, v4
	v_mov_b32_e32 v215, v5
	;; [unrolled: 1-line block ×3, first 2 shown]
	v_pk_fma_f32 v[248:249], v[152:153], s[34:35], v[250:251]
	v_pk_fma_f32 v[4:5], v[152:153], s[34:35], v[250:251] neg_lo:[1,0,0] neg_hi:[1,0,0]
	v_pk_add_f32 v[2:3], v[86:87], v[2:3]
	v_mov_b32_e32 v4, v248
	v_pk_mul_f32 v[254:255], v[200:201], s[72:73]
	v_pk_add_f32 v[2:3], v[4:5], v[2:3]
	v_pk_fma_f32 v[252:253], v[154:155], s[56:57], v[254:255]
	v_pk_fma_f32 v[4:5], v[154:155], s[56:57], v[254:255] neg_lo:[1,0,0] neg_hi:[1,0,0]
	v_pk_mul_f32 v[132:133], v[202:203], s[62:63]
	v_mov_b32_e32 v4, v252
	v_pk_add_f32 v[2:3], v[4:5], v[2:3]
	v_pk_fma_f32 v[244:245], v[156:157], s[18:19], v[132:133]
	v_pk_fma_f32 v[4:5], v[156:157], s[18:19], v[132:133] neg_lo:[1,0,0] neg_hi:[1,0,0]
	v_pk_mul_f32 v[212:213], v[204:205], s[52:53]
	v_mov_b32_e32 v4, v244
	s_mov_b32 s63, 0x3f7ee86f
	v_pk_add_f32 v[2:3], v[4:5], v[2:3]
	v_pk_fma_f32 v[134:135], v[158:159], s[26:27], v[212:213]
	v_pk_fma_f32 v[4:5], v[158:159], s[26:27], v[212:213] neg_lo:[1,0,0] neg_hi:[1,0,0]
	s_mov_b32 s70, s63
	s_mov_b32 s71, s51
	v_mov_b32_e32 v4, v134
	s_mov_b32 s62, s51
	v_pk_mul_f32 v[220:221], v[206:207], s[70:71]
	v_pk_add_f32 v[2:3], v[4:5], v[2:3]
	v_pk_fma_f32 v[216:217], v[160:161], s[62:63], v[220:221]
	v_pk_fma_f32 v[4:5], v[160:161], s[62:63], v[220:221] neg_lo:[1,0,0] neg_hi:[1,0,0]
	v_pk_mul_f32 v[228:229], v[208:209], s[40:41]
	v_mov_b32_e32 v4, v216
	v_pk_add_f32 v[2:3], v[4:5], v[2:3]
	v_pk_fma_f32 v[224:225], v[162:163], s[0:1], v[228:229]
	v_pk_fma_f32 v[4:5], v[162:163], s[0:1], v[228:229] neg_lo:[1,0,0] neg_hi:[1,0,0]
	v_pk_mul_f32 v[236:237], v[210:211], s[46:47]
	v_mov_b32_e32 v4, v224
	v_pk_add_f32 v[2:3], v[4:5], v[2:3]
	v_pk_fma_f32 v[232:233], v[164:165], s[22:23], v[236:237]
	v_pk_fma_f32 v[4:5], v[164:165], s[22:23], v[236:237] neg_lo:[1,0,0] neg_hi:[1,0,0]
	s_mov_b32 s76, s47
	v_mov_b32_e32 v4, v232
	v_pk_add_f32 v[2:3], v[4:5], v[2:3]
	ds_write2_b64 v9, v[0:1], v[2:3] offset0:4 offset1:5
	v_pk_mul_f32 v[0:1], v[34:35], s[46:47] op_sel_hi:[1,0]
	v_pk_mul_f32 v[98:99], v[198:199], s[66:67]
	v_pk_fma_f32 v[126:127], v[194:195], s[76:77], v[0:1] op_sel:[0,0,1] op_sel_hi:[1,0,0]
	v_pk_fma_f32 v[0:1], v[194:195], s[76:77], v[0:1] op_sel:[0,0,1] op_sel_hi:[1,0,0] neg_lo:[0,0,1] neg_hi:[0,0,1]
	v_accvgpr_write_b32 a61, v81
	v_pk_mul_f32 v[100:101], v[200:201], s[40:41]
	v_mov_b32_e32 v80, v126
	v_mov_b32_e32 v81, v1
	v_pk_fma_f32 v[120:121], v[152:153], s[28:29], v[98:99]
	v_pk_fma_f32 v[84:85], v[152:153], s[28:29], v[98:99] neg_lo:[1,0,0] neg_hi:[1,0,0]
	v_pk_mul_f32 v[102:103], v[202:203], s[48:49]
	v_pk_add_f32 v[80:81], v[86:87], v[80:81]
	v_mov_b32_e32 v84, v120
	v_pk_fma_f32 v[118:119], v[154:155], s[0:1], v[100:101]
	v_pk_fma_f32 v[90:91], v[154:155], s[0:1], v[100:101] neg_lo:[1,0,0] neg_hi:[1,0,0]
	v_pk_mul_f32 v[104:105], v[204:205], s[70:71]
	v_pk_add_f32 v[80:81], v[84:85], v[80:81]
	v_mov_b32_e32 v90, v118
	v_pk_fma_f32 v[116:117], v[156:157], s[20:21], v[102:103]
	v_pk_fma_f32 v[92:93], v[156:157], s[20:21], v[102:103] neg_lo:[1,0,0] neg_hi:[1,0,0]
	v_pk_add_f32 v[80:81], v[90:91], v[80:81]
	v_mov_b32_e32 v92, v116
	v_pk_fma_f32 v[114:115], v[158:159], s[62:63], v[104:105]
	v_pk_fma_f32 v[124:125], v[158:159], s[62:63], v[104:105] neg_lo:[1,0,0] neg_hi:[1,0,0]
	v_pk_mul_f32 v[106:107], v[206:207], s[54:55]
	v_pk_add_f32 v[80:81], v[92:93], v[80:81]
	v_mov_b32_e32 v124, v114
	v_pk_add_f32 v[80:81], v[124:125], v[80:81]
	v_pk_fma_f32 v[124:125], v[160:161], s[24:25], v[106:107]
	v_pk_fma_f32 v[128:129], v[160:161], s[24:25], v[106:107] neg_lo:[1,0,0] neg_hi:[1,0,0]
	v_pk_mul_f32 v[110:111], v[208:209], s[52:53]
	v_mov_b32_e32 v128, v124
	v_pk_add_f32 v[80:81], v[128:129], v[80:81]
	v_pk_fma_f32 v[128:129], v[162:163], s[26:27], v[110:111]
	v_pk_fma_f32 v[130:131], v[162:163], s[26:27], v[110:111] neg_lo:[1,0,0] neg_hi:[1,0,0]
	v_pk_mul_f32 v[112:113], v[210:211], s[60:61]
	v_mov_b32_e32 v130, v128
	v_pk_add_f32 v[80:81], v[130:131], v[80:81]
	v_pk_fma_f32 v[130:131], v[164:165], s[38:39], v[112:113]
	v_pk_fma_f32 v[136:137], v[164:165], s[38:39], v[112:113] neg_lo:[1,0,0] neg_hi:[1,0,0]
	s_mov_b32 s54, s49
	v_mov_b32_e32 v136, v130
	v_pk_add_f32 v[80:81], v[136:137], v[80:81]
	v_pk_mul_f32 v[136:137], v[34:35], s[48:49] op_sel_hi:[1,0]
	v_pk_mul_f32 v[2:3], v[198:199], s[60:61]
	v_pk_fma_f32 v[196:197], v[194:195], s[54:55], v[136:137] op_sel:[0,0,1] op_sel_hi:[1,0,0]
	v_pk_fma_f32 v[136:137], v[194:195], s[54:55], v[136:137] op_sel:[0,0,1] op_sel_hi:[1,0,0] neg_lo:[0,0,1] neg_hi:[0,0,1]
	v_mov_b32_e32 v240, v196
	v_mov_b32_e32 v241, v137
	v_pk_fma_f32 v[96:97], v[152:153], s[38:39], v[2:3]
	v_pk_fma_f32 v[4:5], v[152:153], s[38:39], v[2:3] neg_lo:[1,0,0] neg_hi:[1,0,0]
	v_pk_add_f32 v[240:241], v[86:87], v[240:241]
	v_mov_b32_e32 v4, v96
	v_accvgpr_write_b32 a87, v7
	v_pk_add_f32 v[4:5], v[4:5], v[240:241]
	v_pk_mul_f32 v[240:241], v[200:201], s[50:51]
	v_accvgpr_write_b32 a86, v6
	v_pk_fma_f32 v[94:95], v[154:155], s[14:15], v[240:241]
	v_pk_fma_f32 v[6:7], v[154:155], s[14:15], v[240:241] neg_lo:[1,0,0] neg_hi:[1,0,0]
	v_accvgpr_write_b32 a79, v11
	v_mov_b32_e32 v6, v94
	v_pk_add_f32 v[4:5], v[6:7], v[4:5]
	v_pk_mul_f32 v[6:7], v[202:203], s[74:75]
	v_accvgpr_write_b32 a71, v65
	v_pk_fma_f32 v[92:93], v[156:157], s[68:69], v[6:7]
	v_pk_fma_f32 v[10:11], v[156:157], s[68:69], v[6:7] neg_lo:[1,0,0] neg_hi:[1,0,0]
	v_accvgpr_write_b32 a67, v67
	v_mov_b32_e32 v10, v92
	;; [unrolled: 7-line block ×3, first 2 shown]
	v_pk_add_f32 v[4:5], v[64:65], v[4:5]
	v_pk_mul_f32 v[64:65], v[206:207], s[52:53]
	v_accvgpr_write_b32 a63, v71
	v_pk_fma_f32 v[88:89], v[160:161], s[26:27], v[64:65]
	v_pk_fma_f32 v[66:67], v[160:161], s[26:27], v[64:65] neg_lo:[1,0,0] neg_hi:[1,0,0]
	s_mov_b32 s40, s53
	v_mov_b32_e32 v66, v88
	v_pk_add_f32 v[4:5], v[66:67], v[4:5]
	v_pk_mul_f32 v[66:67], v[208:209], s[72:73]
	v_accvgpr_write_b32 a42, v140
	v_pk_fma_f32 v[84:85], v[162:163], s[56:57], v[66:67]
	v_pk_fma_f32 v[68:69], v[162:163], s[56:57], v[66:67] neg_lo:[1,0,0] neg_hi:[1,0,0]
	v_accvgpr_write_b32 a43, v141
	v_mov_b32_e32 v68, v84
	v_pk_add_f32 v[4:5], v[68:69], v[4:5]
	v_pk_mul_f32 v[68:69], v[210:211], s[44:45]
	v_accvgpr_write_b32 a44, v144
	v_pk_fma_f32 v[82:83], v[164:165], s[30:31], v[68:69]
	v_pk_fma_f32 v[70:71], v[164:165], s[30:31], v[68:69] neg_lo:[1,0,0] neg_hi:[1,0,0]
	v_accvgpr_write_b32 a45, v145
	v_mov_b32_e32 v70, v82
	v_pk_add_f32 v[4:5], v[70:71], v[4:5]
	ds_write2_b64 v9, v[80:81], v[4:5] offset0:6 offset1:7
	v_pk_mul_f32 v[4:5], v[34:35], s[52:53] op_sel_hi:[1,0]
	v_pk_mul_f32 v[70:71], v[198:199], s[64:65]
	v_pk_mul_f32 v[80:81], v[200:201], s[48:49]
	;; [unrolled: 1-line block ×4, first 2 shown]
	v_pk_fma_f32 v[208:209], v[194:195], s[40:41], v[4:5] op_sel:[0,0,1] op_sel_hi:[1,0,0]
	v_pk_fma_f32 v[4:5], v[194:195], s[40:41], v[4:5] op_sel:[0,0,1] op_sel_hi:[1,0,0] neg_lo:[0,0,1] neg_hi:[0,0,1]
	v_pk_mul_f32 v[198:199], v[202:203], s[72:73]
	v_pk_mul_f32 v[202:203], v[206:207], s[60:61]
	;; [unrolled: 1-line block ×3, first 2 shown]
	v_mov_b32_e32 v194, v208
	v_mov_b32_e32 v195, v5
	;; [unrolled: 1-line block ×3, first 2 shown]
	v_pk_fma_f32 v[122:123], v[152:153], s[42:43], v[70:71]
	v_pk_fma_f32 v[210:211], v[152:153], s[42:43], v[70:71] neg_lo:[1,0,0] neg_hi:[1,0,0]
	v_mov_b32_e32 v5, v209
	v_pk_fma_f32 v[70:71], v[152:153], s[42:43], v[70:71] neg_lo:[0,0,1] neg_hi:[0,0,1]
	v_pk_add_f32 v[194:195], v[86:87], v[194:195]
	v_mov_b32_e32 v210, v122
	v_pk_add_f32 v[4:5], v[86:87], v[4:5]
	v_mov_b32_e32 v71, v123
	v_pk_add_f32 v[194:195], v[210:211], v[194:195]
	v_pk_fma_f32 v[140:141], v[154:155], s[20:21], v[80:81]
	v_pk_fma_f32 v[210:211], v[154:155], s[20:21], v[80:81] neg_lo:[1,0,0] neg_hi:[1,0,0]
	v_pk_add_f32 v[4:5], v[70:71], v[4:5]
	v_pk_fma_f32 v[70:71], v[154:155], s[20:21], v[80:81] neg_lo:[0,0,1] neg_hi:[0,0,1]
	v_mov_b32_e32 v210, v140
	v_mov_b32_e32 v71, v141
	v_pk_add_f32 v[194:195], v[210:211], v[194:195]
	v_pk_fma_f32 v[138:139], v[156:157], s[56:57], v[198:199]
	v_pk_fma_f32 v[210:211], v[156:157], s[56:57], v[198:199] neg_lo:[1,0,0] neg_hi:[1,0,0]
	v_pk_add_f32 v[4:5], v[70:71], v[4:5]
	v_pk_fma_f32 v[70:71], v[156:157], s[56:57], v[198:199] neg_lo:[0,0,1] neg_hi:[0,0,1]
	v_mov_b32_e32 v210, v138
	;; [unrolled: 7-line block ×3, first 2 shown]
	v_mov_b32_e32 v71, v145
	v_pk_add_f32 v[194:195], v[210:211], v[194:195]
	v_mov_b32_e32 v1, v143
	v_pk_fma_f32 v[142:143], v[160:161], s[38:39], v[202:203]
	v_pk_fma_f32 v[210:211], v[160:161], s[38:39], v[202:203] neg_lo:[1,0,0] neg_hi:[1,0,0]
	v_pk_add_f32 v[4:5], v[70:71], v[4:5]
	v_pk_fma_f32 v[70:71], v[160:161], s[38:39], v[202:203] neg_lo:[0,0,1] neg_hi:[0,0,1]
	v_mov_b32_e32 v210, v142
	v_mov_b32_e32 v71, v143
	v_pk_add_f32 v[194:195], v[210:211], v[194:195]
	v_mov_b32_e32 v84, v148
	v_pk_fma_f32 v[148:149], v[162:163], s[30:31], v[204:205]
	v_pk_fma_f32 v[210:211], v[162:163], s[30:31], v[204:205] neg_lo:[1,0,0] neg_hi:[1,0,0]
	v_pk_add_f32 v[4:5], v[70:71], v[4:5]
	v_pk_fma_f32 v[70:71], v[162:163], s[30:31], v[204:205] neg_lo:[0,0,1] neg_hi:[0,0,1]
	v_mov_b32_e32 v210, v148
	v_mov_b32_e32 v71, v149
	v_accvgpr_write_b32 a75, v33
	v_pk_add_f32 v[194:195], v[210:211], v[194:195]
	v_pk_fma_f32 v[32:33], v[164:165], s[62:63], v[206:207]
	v_pk_fma_f32 v[210:211], v[164:165], s[62:63], v[206:207] neg_lo:[1,0,0] neg_hi:[1,0,0]
	v_pk_add_f32 v[4:5], v[70:71], v[4:5]
	v_pk_fma_f32 v[70:71], v[164:165], s[62:63], v[206:207] neg_lo:[0,0,1] neg_hi:[0,0,1]
	v_mov_b32_e32 v210, v32
	v_mov_b32_e32 v71, v33
	v_pk_add_f32 v[34:35], v[210:211], v[194:195]
	v_pk_add_f32 v[4:5], v[70:71], v[4:5]
	v_mov_b32_e32 v137, v197
	v_pk_fma_f32 v[2:3], v[152:153], s[38:39], v[2:3] neg_lo:[0,0,1] neg_hi:[0,0,1]
	ds_write2_b64 v9, v[34:35], v[4:5] offset0:8 offset1:9
	v_pk_add_f32 v[4:5], v[86:87], v[136:137]
	v_mov_b32_e32 v3, v97
	v_pk_add_f32 v[2:3], v[2:3], v[4:5]
	v_pk_fma_f32 v[4:5], v[154:155], s[14:15], v[240:241] neg_lo:[0,0,1] neg_hi:[0,0,1]
	v_mov_b32_e32 v143, v1
	v_mov_b32_e32 v5, v95
	v_pk_add_f32 v[2:3], v[4:5], v[2:3]
	v_pk_fma_f32 v[4:5], v[156:157], s[68:69], v[6:7] neg_lo:[0,0,1] neg_hi:[0,0,1]
	v_mov_b32_e32 v1, v127
	v_mov_b32_e32 v5, v93
	v_pk_add_f32 v[2:3], v[4:5], v[2:3]
	v_pk_fma_f32 v[4:5], v[158:159], s[0:1], v[10:11] neg_lo:[0,0,1] neg_hi:[0,0,1]
	v_pk_add_f32 v[0:1], v[86:87], v[0:1]
	v_mov_b32_e32 v5, v91
	v_pk_add_f32 v[2:3], v[4:5], v[2:3]
	v_pk_fma_f32 v[4:5], v[160:161], s[26:27], v[64:65] neg_lo:[0,0,1] neg_hi:[0,0,1]
	v_mov_b32_e32 v247, v215
	v_mov_b32_e32 v5, v89
	v_pk_add_f32 v[2:3], v[4:5], v[2:3]
	v_pk_fma_f32 v[4:5], v[162:163], s[56:57], v[66:67] neg_lo:[0,0,1] neg_hi:[0,0,1]
	v_mov_b32_e32 v215, v109
	v_mov_b32_e32 v5, v85
	v_pk_add_f32 v[2:3], v[4:5], v[2:3]
	v_pk_fma_f32 v[4:5], v[164:165], s[30:31], v[68:69] neg_lo:[0,0,1] neg_hi:[0,0,1]
	v_accvgpr_read_b32 v109, a27
	v_mov_b32_e32 v5, v83
	v_pk_add_f32 v[2:3], v[4:5], v[2:3]
	v_pk_fma_f32 v[4:5], v[152:153], s[28:29], v[98:99] neg_lo:[0,0,1] neg_hi:[0,0,1]
	v_accvgpr_read_b32 v145, a45
	;; [unrolled: 4-line block ×4, first 2 shown]
	v_mov_b32_e32 v5, v117
	v_pk_add_f32 v[0:1], v[4:5], v[0:1]
	v_pk_fma_f32 v[4:5], v[158:159], s[62:63], v[104:105] neg_lo:[0,0,1] neg_hi:[0,0,1]
	v_mov_b32_e32 v122, v82
	v_mov_b32_e32 v5, v115
	v_pk_add_f32 v[0:1], v[4:5], v[0:1]
	v_pk_fma_f32 v[4:5], v[160:161], s[24:25], v[106:107] neg_lo:[0,0,1] neg_hi:[0,0,1]
	v_accvgpr_read_b32 v144, a44
	v_mov_b32_e32 v5, v125
	v_pk_add_f32 v[0:1], v[4:5], v[0:1]
	v_pk_fma_f32 v[4:5], v[162:163], s[26:27], v[110:111] neg_lo:[0,0,1] neg_hi:[0,0,1]
	v_accvgpr_read_b32 v140, a42
	v_mov_b32_e32 v5, v129
	v_pk_add_f32 v[0:1], v[4:5], v[0:1]
	v_pk_fma_f32 v[4:5], v[164:165], s[38:39], v[112:113] neg_lo:[0,0,1] neg_hi:[0,0,1]
	v_mov_b32_e32 v148, v84
	v_mov_b32_e32 v5, v131
	v_pk_add_f32 v[0:1], v[4:5], v[0:1]
	ds_write2_b64 v9, v[2:3], v[0:1] offset0:10 offset1:11
	v_pk_fma_f32 v[2:3], v[152:153], s[34:35], v[250:251] neg_lo:[0,0,1] neg_hi:[0,0,1]
	v_pk_add_f32 v[0:1], v[86:87], v[246:247]
	v_mov_b32_e32 v3, v249
	v_pk_add_f32 v[0:1], v[2:3], v[0:1]
	v_pk_fma_f32 v[2:3], v[154:155], s[56:57], v[254:255] neg_lo:[0,0,1] neg_hi:[0,0,1]
	v_pk_fma_f32 v[4:5], v[152:153], s[26:27], v[218:219] neg_lo:[0,0,1] neg_hi:[0,0,1]
	v_mov_b32_e32 v3, v253
	v_pk_add_f32 v[0:1], v[2:3], v[0:1]
	v_pk_fma_f32 v[2:3], v[156:157], s[18:19], v[132:133] neg_lo:[0,0,1] neg_hi:[0,0,1]
	v_accvgpr_read_b32 v5, a89
	v_mov_b32_e32 v3, v245
	v_pk_add_f32 v[0:1], v[2:3], v[0:1]
	v_pk_fma_f32 v[2:3], v[158:159], s[26:27], v[212:213] neg_lo:[0,0,1] neg_hi:[0,0,1]
	v_accvgpr_read_b32 v197, a1
	;; [unrolled: 4-line block ×5, first 2 shown]
	v_mov_b32_e32 v3, v233
	v_pk_add_f32 v[0:1], v[2:3], v[0:1]
	v_pk_add_f32 v[2:3], v[86:87], v[214:215]
	v_accvgpr_read_b32 v136, a38
	v_pk_add_f32 v[2:3], v[4:5], v[2:3]
	v_pk_fma_f32 v[4:5], v[154:155], s[28:29], v[222:223] neg_lo:[0,0,1] neg_hi:[0,0,1]
	s_nop 0
	v_accvgpr_read_b32 v5, a91
	v_pk_add_f32 v[2:3], v[4:5], v[2:3]
	v_pk_fma_f32 v[4:5], v[156:157], s[42:43], v[226:227] neg_lo:[0,0,1] neg_hi:[0,0,1]
	s_nop 0
	;; [unrolled: 4-line block ×6, first 2 shown]
	v_accvgpr_read_b32 v5, a101
	v_pk_add_f32 v[2:3], v[4:5], v[2:3]
	ds_write2_b64 v9, v[0:1], v[2:3] offset0:12 offset1:13
	v_accvgpr_read_b32 v2, a68
	v_accvgpr_read_b32 v3, a69
	v_pk_fma_f32 v[2:3], v[152:153], s[22:23], v[2:3] neg_lo:[0,0,1] neg_hi:[0,0,1]
	v_pk_add_f32 v[0:1], v[86:87], v[108:109]
	v_accvgpr_read_b32 v3, a61
	v_pk_add_f32 v[0:1], v[2:3], v[0:1]
	v_accvgpr_read_b32 v2, a72
	v_accvgpr_read_b32 v3, a73
	v_pk_fma_f32 v[2:3], v[154:155], s[58:59], v[2:3] neg_lo:[0,0,1] neg_hi:[0,0,1]
	s_nop 0
	v_accvgpr_read_b32 v3, a63
	v_pk_add_f32 v[0:1], v[2:3], v[0:1]
	v_accvgpr_read_b32 v2, a76
	v_accvgpr_read_b32 v3, a77
	v_pk_fma_f32 v[2:3], v[156:157], s[28:29], v[2:3] neg_lo:[0,0,1] neg_hi:[0,0,1]
	s_nop 0
	;; [unrolled: 6-line block ×6, first 2 shown]
	v_accvgpr_read_b32 v3, a79
	v_pk_add_f32 v[0:1], v[2:3], v[0:1]
	v_accvgpr_read_b32 v2, a46
	v_accvgpr_read_b32 v3, a47
	ds_write2_b64 v9, v[0:1], v[2:3] offset0:14 offset1:15
	ds_write_b64 v9, v[136:137] offset:128
.LBB0_17:
	s_or_b64 exec, exec, s[36:37]
	v_add_u32_e32 v9, 0x1c00, v8
	s_waitcnt lgkmcnt(0)
	s_barrier
	ds_read2_b64 v[0:3], v9 offset0:56 offset1:175
	v_add_u32_e32 v90, 0xc00, v8
	ds_read2_b64 v[4:7], v90 offset0:92 offset1:211
	ds_read_b64 v[10:11], v8 offset:13328
	v_add_u32_e32 v92, 0x2c00, v8
	ds_read2_b64 v[84:87], v92 offset0:20 offset1:139
	s_waitcnt lgkmcnt(3)
	v_pk_mul_f32 v[28:29], v[28:29], v[2:3]
	s_mov_b32 s0, 0x3f5db3d7
	v_pk_fma_f32 v[32:33], v[192:193], v[2:3], v[28:29] op_sel:[0,0,1] op_sel_hi:[1,1,0]
	v_pk_fma_f32 v[2:3], v[192:193], v[2:3], v[28:29] op_sel:[0,0,1] op_sel_hi:[1,1,0] neg_lo:[0,0,1] neg_hi:[0,0,1]
	v_add_u32_e32 v91, 0x400, v8
	v_mov_b32_e32 v33, v3
	s_waitcnt lgkmcnt(1)
	v_pk_mul_f32 v[2:3], v[30:31], v[10:11]
	ds_read2_b64 v[28:31], v91 offset0:110 offset1:229
	v_pk_fma_f32 v[34:35], v[190:191], v[10:11], v[2:3] op_sel:[0,0,1] op_sel_hi:[1,1,0]
	v_pk_fma_f32 v[2:3], v[190:191], v[10:11], v[2:3] op_sel:[0,0,1] op_sel_hi:[1,1,0] neg_lo:[0,0,1] neg_hi:[0,0,1]
	v_add_u32_e32 v93, 0x1400, v8
	v_mov_b32_e32 v35, v3
	v_pk_add_f32 v[2:3], v[32:33], v[34:35]
	v_pk_add_f32 v[10:11], v[32:33], v[34:35] neg_lo:[0,1] neg_hi:[0,1]
	v_pk_fma_f32 v[2:3], v[2:3], 0.5, v[4:5] op_sel_hi:[1,0,1] neg_lo:[1,0,0] neg_hi:[1,0,0]
	v_pk_mul_f32 v[10:11], v[10:11], s[0:1] op_sel_hi:[1,0]
	v_add_u32_e32 v94, 0x2400, v8
	v_pk_add_f32 v[64:65], v[2:3], v[10:11] op_sel:[0,1] op_sel_hi:[1,0]
	v_pk_add_f32 v[10:11], v[2:3], v[10:11] op_sel:[0,1] op_sel_hi:[1,0] neg_lo:[0,1] neg_hi:[0,1]
	v_pk_mul_f32 v[2:3], v[24:25], v[0:1]
	v_pk_mul_f32 v[12:13], v[12:13], v[6:7]
	v_pk_fma_f32 v[66:67], v[188:189], v[0:1], v[2:3] op_sel:[0,0,1] op_sel_hi:[1,1,0]
	v_pk_fma_f32 v[0:1], v[188:189], v[0:1], v[2:3] op_sel:[0,0,1] op_sel_hi:[1,1,0] neg_lo:[0,0,1] neg_hi:[0,0,1]
	s_mov_b32 s18, 0x3f167918
	v_mov_b32_e32 v67, v1
	s_waitcnt lgkmcnt(1)
	v_pk_mul_f32 v[0:1], v[26:27], v[86:87]
	s_mov_b32 s14, 0x3e9e377a
	v_pk_fma_f32 v[68:69], v[186:187], v[86:87], v[0:1] op_sel:[0,0,1] op_sel_hi:[1,1,0]
	v_pk_fma_f32 v[0:1], v[186:187], v[86:87], v[0:1] op_sel:[0,0,1] op_sel_hi:[1,1,0] neg_lo:[0,0,1] neg_hi:[0,0,1]
	s_nop 0
	v_mov_b32_e32 v69, v1
	v_pk_add_f32 v[0:1], v[66:67], v[68:69]
	v_pk_add_f32 v[26:27], v[66:67], v[68:69] neg_lo:[0,1] neg_hi:[0,1]
	s_waitcnt lgkmcnt(0)
	v_pk_fma_f32 v[24:25], v[0:1], 0.5, v[30:31] op_sel_hi:[1,0,1] neg_lo:[1,0,0] neg_hi:[1,0,0]
	ds_read2_b64 v[0:3], v93 offset0:74 offset1:193
	v_pk_mul_f32 v[26:27], v[26:27], s[0:1] op_sel_hi:[1,0]
	s_waitcnt lgkmcnt(0)
	v_pk_mul_f32 v[20:21], v[20:21], v[2:3]
	s_nop 0
	v_pk_fma_f32 v[82:83], v[184:185], v[2:3], v[20:21] op_sel:[0,0,1] op_sel_hi:[1,1,0]
	v_pk_fma_f32 v[2:3], v[184:185], v[2:3], v[20:21] op_sel:[0,0,1] op_sel_hi:[1,1,0] neg_lo:[0,0,1] neg_hi:[0,0,1]
	v_pk_add_f32 v[70:71], v[24:25], v[26:27] op_sel:[0,1] op_sel_hi:[1,0]
	v_mov_b32_e32 v83, v3
	v_pk_mul_f32 v[2:3], v[22:23], v[84:85]
	v_pk_add_f32 v[80:81], v[24:25], v[26:27] op_sel:[0,1] op_sel_hi:[1,0] neg_lo:[0,1] neg_hi:[0,1]
	v_pk_fma_f32 v[86:87], v[182:183], v[84:85], v[2:3] op_sel:[0,0,1] op_sel_hi:[1,1,0]
	v_pk_fma_f32 v[2:3], v[182:183], v[84:85], v[2:3] op_sel:[0,0,1] op_sel_hi:[1,1,0] neg_lo:[0,0,1] neg_hi:[0,0,1]
	ds_read2_b64 v[24:27], v94 offset0:38 offset1:157
	v_mov_b32_e32 v87, v3
	v_pk_add_f32 v[2:3], v[82:83], v[86:87]
	v_pk_add_f32 v[20:21], v[82:83], v[86:87] neg_lo:[0,1] neg_hi:[0,1]
	v_pk_fma_f32 v[2:3], v[2:3], 0.5, v[28:29] op_sel_hi:[1,0,1] neg_lo:[1,0,0] neg_hi:[1,0,0]
	v_pk_mul_f32 v[20:21], v[20:21], s[0:1] op_sel_hi:[1,0]
	v_pk_mul_f32 v[16:17], v[16:17], v[0:1]
	v_pk_add_f32 v[84:85], v[2:3], v[20:21] op_sel:[0,1] op_sel_hi:[1,0]
	v_pk_add_f32 v[2:3], v[2:3], v[20:21] op_sel:[0,1] op_sel_hi:[1,0] neg_lo:[0,1] neg_hi:[0,1]
	ds_read2_b64 v[20:23], v8 offset1:119
	v_pk_fma_f32 v[88:89], v[180:181], v[0:1], v[16:17] op_sel:[0,0,1] op_sel_hi:[1,1,0]
	v_pk_fma_f32 v[0:1], v[180:181], v[0:1], v[16:17] op_sel:[0,0,1] op_sel_hi:[1,1,0] neg_lo:[0,0,1] neg_hi:[0,0,1]
	s_waitcnt lgkmcnt(0)
	v_mov_b32_e32 v89, v1
	v_pk_mul_f32 v[0:1], v[18:19], v[26:27]
	v_pk_fma_f32 v[18:19], v[176:177], v[6:7], v[12:13] op_sel:[0,0,1] op_sel_hi:[1,1,0]
	v_pk_fma_f32 v[6:7], v[176:177], v[6:7], v[12:13] op_sel:[0,0,1] op_sel_hi:[1,1,0] neg_lo:[0,0,1] neg_hi:[0,0,1]
	v_pk_fma_f32 v[16:17], v[178:179], v[26:27], v[0:1] op_sel:[0,0,1] op_sel_hi:[1,1,0]
	v_mov_b32_e32 v19, v7
	v_pk_mul_f32 v[6:7], v[14:15], v[24:25]
	v_pk_fma_f32 v[0:1], v[178:179], v[26:27], v[0:1] op_sel:[0,0,1] op_sel_hi:[1,1,0] neg_lo:[0,0,1] neg_hi:[0,0,1]
	v_pk_fma_f32 v[12:13], v[174:175], v[24:25], v[6:7] op_sel:[0,0,1] op_sel_hi:[1,1,0]
	v_pk_fma_f32 v[6:7], v[174:175], v[24:25], v[6:7] op_sel:[0,0,1] op_sel_hi:[1,1,0] neg_lo:[0,0,1] neg_hi:[0,0,1]
	v_mov_b32_e32 v17, v1
	v_mov_b32_e32 v13, v7
	v_pk_add_f32 v[6:7], v[20:21], v[18:19]
	v_pk_add_f32 v[14:15], v[18:19], v[12:13]
	;; [unrolled: 1-line block ×3, first 2 shown]
	v_pk_add_f32 v[12:13], v[18:19], v[12:13] neg_lo:[0,1] neg_hi:[0,1]
	v_pk_fma_f32 v[14:15], v[14:15], 0.5, v[20:21] op_sel_hi:[1,0,1] neg_lo:[1,0,0] neg_hi:[1,0,0]
	v_pk_mul_f32 v[12:13], v[12:13], s[0:1] op_sel_hi:[1,0]
	s_barrier
	v_pk_add_f32 v[18:19], v[14:15], v[12:13] op_sel:[0,1] op_sel_hi:[1,0] neg_lo:[0,1] neg_hi:[0,1]
	v_pk_add_f32 v[12:13], v[14:15], v[12:13] op_sel:[0,1] op_sel_hi:[1,0]
	v_mov_b32_e32 v14, v18
	v_mov_b32_e32 v15, v13
	v_accvgpr_read_b32 v18, a19
	v_mov_b32_e32 v13, v19
	ds_write2_b64 v18, v[6:7], v[14:15] offset1:17
	ds_write_b64 v18, v[12:13] offset:272
	v_pk_add_f32 v[6:7], v[88:89], v[16:17]
	v_pk_add_f32 v[12:13], v[88:89], v[16:17] neg_lo:[0,1] neg_hi:[0,1]
	v_pk_fma_f32 v[6:7], v[6:7], 0.5, v[22:23] op_sel_hi:[1,0,1] neg_lo:[1,0,0] neg_hi:[1,0,0]
	v_pk_mul_f32 v[12:13], v[12:13], s[0:1] op_sel_hi:[1,0]
	v_pk_add_f32 v[0:1], v[22:23], v[88:89]
	v_pk_add_f32 v[14:15], v[6:7], v[12:13] op_sel:[0,1] op_sel_hi:[1,0] neg_lo:[0,1] neg_hi:[0,1]
	v_pk_add_f32 v[6:7], v[6:7], v[12:13] op_sel:[0,1] op_sel_hi:[1,0]
	v_pk_add_f32 v[0:1], v[0:1], v[16:17]
	v_mov_b32_e32 v12, v14
	v_mov_b32_e32 v13, v7
	v_accvgpr_read_b32 v14, a17
	ds_write2_b64 v14, v[0:1], v[12:13] offset1:17
	v_mov_b32_e32 v7, v15
	v_pk_add_f32 v[0:1], v[28:29], v[82:83]
	ds_write_b64 v14, v[6:7] offset:272
	v_pk_add_f32 v[0:1], v[0:1], v[86:87]
	v_mov_b32_e32 v6, v2
	v_mov_b32_e32 v7, v85
	v_accvgpr_read_b32 v2, a16
	ds_write2_b64 v2, v[0:1], v[6:7] offset1:17
	v_mov_b32_e32 v85, v3
	v_pk_add_f32 v[0:1], v[30:31], v[66:67]
	ds_write_b64 v2, v[84:85] offset:272
	v_pk_add_f32 v[0:1], v[0:1], v[68:69]
	v_mov_b32_e32 v2, v80
	v_mov_b32_e32 v3, v71
	v_accvgpr_read_b32 v6, a3
	ds_write2_b64 v6, v[0:1], v[2:3] offset1:17
	v_pk_add_f32 v[0:1], v[4:5], v[32:33]
	v_mov_b32_e32 v71, v81
	v_pk_add_f32 v[0:1], v[0:1], v[34:35]
	v_mov_b32_e32 v2, v10
	v_mov_b32_e32 v3, v65
	;; [unrolled: 1-line block ×3, first 2 shown]
	ds_write_b64 v6, v[70:71] offset:272
	ds_write2_b64 v197, v[0:1], v[2:3] offset1:17
	ds_write_b64 v197, v[64:65] offset:272
	s_waitcnt lgkmcnt(0)
	s_barrier
	ds_read2_b64 v[0:3], v90 offset0:92 offset1:211
	ds_read2_b64 v[4:7], v91 offset0:110 offset1:229
	;; [unrolled: 1-line block ×4, first 2 shown]
	ds_read_b64 v[10:11], v8 offset:13328
	s_waitcnt lgkmcnt(4)
	v_pk_mul_f32 v[20:21], v[60:61], v[2:3]
	s_mov_b32 s0, 0x3f737871
	v_pk_fma_f32 v[30:31], v[172:173], v[2:3], v[20:21] op_sel:[0,0,1] op_sel_hi:[1,1,0]
	v_pk_fma_f32 v[2:3], v[172:173], v[2:3], v[20:21] op_sel:[0,0,1] op_sel_hi:[1,1,0] neg_lo:[0,0,1] neg_hi:[0,0,1]
	v_pk_mul_f32 v[52:53], v[52:53], v[0:1]
	v_mov_b32_e32 v31, v3
	s_waitcnt lgkmcnt(2)
	v_pk_mul_f32 v[2:3], v[62:63], v[12:13]
	v_pk_fma_f32 v[62:63], v[150:151], v[0:1], v[52:53] op_sel:[0,0,1] op_sel_hi:[1,1,0]
	v_pk_fma_f32 v[32:33], v[170:171], v[12:13], v[2:3] op_sel:[0,0,1] op_sel_hi:[1,1,0]
	v_pk_fma_f32 v[2:3], v[170:171], v[12:13], v[2:3] op_sel:[0,0,1] op_sel_hi:[1,1,0] neg_lo:[0,0,1] neg_hi:[0,0,1]
	v_pk_fma_f32 v[0:1], v[150:151], v[0:1], v[52:53] op_sel:[0,0,1] op_sel_hi:[1,1,0] neg_lo:[0,0,1] neg_hi:[0,0,1]
	v_mov_b32_e32 v33, v3
	s_waitcnt lgkmcnt(1)
	v_pk_mul_f32 v[2:3], v[56:57], v[18:19]
	v_mov_b32_e32 v63, v1
	v_pk_fma_f32 v[12:13], v[168:169], v[18:19], v[2:3] op_sel:[0,0,1] op_sel_hi:[1,1,0]
	v_pk_fma_f32 v[2:3], v[168:169], v[18:19], v[2:3] op_sel:[0,0,1] op_sel_hi:[1,1,0] neg_lo:[0,0,1] neg_hi:[0,0,1]
	v_pk_add_f32 v[18:19], v[30:31], v[32:33] neg_lo:[0,1] neg_hi:[0,1]
	v_mov_b32_e32 v13, v3
	s_waitcnt lgkmcnt(0)
	v_pk_mul_f32 v[2:3], v[58:59], v[10:11]
	v_pk_add_f32 v[56:57], v[32:33], v[12:13] neg_lo:[0,1] neg_hi:[0,1]
	v_pk_fma_f32 v[34:35], v[166:167], v[10:11], v[2:3] op_sel:[0,0,1] op_sel_hi:[1,1,0]
	v_pk_fma_f32 v[2:3], v[166:167], v[10:11], v[2:3] op_sel:[0,0,1] op_sel_hi:[1,1,0] neg_lo:[0,0,1] neg_hi:[0,0,1]
	v_accvgpr_read_b32 v67, a47
	v_mov_b32_e32 v35, v3
	v_pk_add_f32 v[2:3], v[32:33], v[12:13]
	v_pk_add_f32 v[10:11], v[30:31], v[34:35] neg_lo:[0,1] neg_hi:[0,1]
	v_pk_fma_f32 v[2:3], v[2:3], 0.5, v[4:5] op_sel_hi:[1,0,1] neg_lo:[1,0,0] neg_hi:[1,0,0]
	v_pk_add_f32 v[20:21], v[34:35], v[12:13] neg_lo:[0,1] neg_hi:[0,1]
	v_accvgpr_read_b32 v66, a46
	v_pk_add_f32 v[58:59], v[18:19], v[20:21]
	v_pk_fma_f32 v[18:19], v[10:11], s[0:1], v[2:3] op_sel:[1,0,0] op_sel_hi:[0,0,1]
	v_pk_fma_f32 v[2:3], v[10:11], s[0:1], v[2:3] op_sel:[1,0,0] op_sel_hi:[0,0,1] neg_lo:[1,0,0] neg_hi:[1,0,0]
	v_pk_fma_f32 v[2:3], v[56:57], s[18:19], v[2:3] op_sel:[1,0,0] op_sel_hi:[0,0,1] neg_lo:[1,0,0] neg_hi:[1,0,0]
	v_pk_fma_f32 v[60:61], v[56:57], s[18:19], v[18:19] op_sel:[1,0,0] op_sel_hi:[0,0,1]
	v_mov_b32_e32 v18, v60
	v_mov_b32_e32 v19, v3
	v_pk_fma_f32 v[64:65], v[58:59], s[14:15], v[18:19] op_sel_hi:[1,0,1]
	ds_read2_b64 v[18:21], v8 offset1:119
	ds_read2_b64 v[22:25], v93 offset0:74 offset1:193
	ds_read2_b64 v[26:29], v92 offset0:20 offset1:139
	v_accvgpr_read_b32 v3, a26
	s_waitcnt lgkmcnt(0)
	s_barrier
	v_pk_mul_f32 v[0:1], v[54:55], v[24:25]
	v_accvgpr_read_b32 v54, a58
	v_accvgpr_read_b32 v55, a59
	v_pk_fma_f32 v[52:53], v[54:55], v[24:25], v[0:1] op_sel:[0,0,1] op_sel_hi:[1,1,0]
	v_pk_fma_f32 v[0:1], v[54:55], v[24:25], v[0:1] op_sel:[0,0,1] op_sel_hi:[1,1,0] neg_lo:[0,0,1] neg_hi:[0,0,1]
	s_nop 0
	v_mov_b32_e32 v53, v1
	v_pk_mul_f32 v[0:1], v[48:49], v[16:17]
	v_accvgpr_read_b32 v48, a56
	v_pk_fma_f32 v[24:25], v[146:147], v[16:17], v[0:1] op_sel:[0,0,1] op_sel_hi:[1,1,0]
	v_pk_fma_f32 v[0:1], v[146:147], v[16:17], v[0:1] op_sel:[0,0,1] op_sel_hi:[1,1,0] neg_lo:[0,0,1] neg_hi:[0,0,1]
	v_accvgpr_read_b32 v49, a57
	v_mov_b32_e32 v25, v1
	v_pk_mul_f32 v[0:1], v[50:51], v[28:29]
	s_nop 0
	v_pk_fma_f32 v[16:17], v[48:49], v[28:29], v[0:1] op_sel:[0,0,1] op_sel_hi:[1,1,0]
	v_pk_fma_f32 v[0:1], v[48:49], v[28:29], v[0:1] op_sel:[0,0,1] op_sel_hi:[1,1,0] neg_lo:[0,0,1] neg_hi:[0,0,1]
	v_accvgpr_read_b32 v48, a54
	v_pk_mul_f32 v[28:29], v[44:45], v[6:7]
	v_accvgpr_read_b32 v49, a55
	v_pk_fma_f32 v[44:45], v[48:49], v[6:7], v[28:29] op_sel:[0,0,1] op_sel_hi:[1,1,0]
	v_pk_fma_f32 v[6:7], v[48:49], v[6:7], v[28:29] op_sel:[0,0,1] op_sel_hi:[1,1,0] neg_lo:[0,0,1] neg_hi:[0,0,1]
	v_mov_b32_e32 v17, v1
	v_mov_b32_e32 v45, v7
	v_pk_mul_f32 v[6:7], v[46:47], v[22:23]
	v_accvgpr_read_b32 v46, a52
	v_accvgpr_read_b32 v47, a53
	v_pk_fma_f32 v[28:29], v[46:47], v[22:23], v[6:7] op_sel:[0,0,1] op_sel_hi:[1,1,0]
	v_pk_fma_f32 v[6:7], v[46:47], v[22:23], v[6:7] op_sel:[0,0,1] op_sel_hi:[1,1,0] neg_lo:[0,0,1] neg_hi:[0,0,1]
	v_pk_add_f32 v[0:1], v[20:21], v[62:63]
	v_mov_b32_e32 v29, v7
	v_pk_mul_f32 v[6:7], v[40:41], v[14:15]
	v_accvgpr_read_b32 v40, a50
	v_accvgpr_read_b32 v41, a51
	v_pk_fma_f32 v[22:23], v[40:41], v[14:15], v[6:7] op_sel:[0,0,1] op_sel_hi:[1,1,0]
	v_pk_fma_f32 v[6:7], v[40:41], v[14:15], v[6:7] op_sel:[0,0,1] op_sel_hi:[1,1,0] neg_lo:[0,0,1] neg_hi:[0,0,1]
	v_accvgpr_read_b32 v40, a48
	v_mov_b32_e32 v23, v7
	v_pk_mul_f32 v[6:7], v[42:43], v[26:27]
	v_accvgpr_read_b32 v41, a49
	v_pk_fma_f32 v[14:15], v[40:41], v[26:27], v[6:7] op_sel:[0,0,1] op_sel_hi:[1,1,0]
	v_pk_fma_f32 v[6:7], v[40:41], v[26:27], v[6:7] op_sel:[0,0,1] op_sel_hi:[1,1,0] neg_lo:[0,0,1] neg_hi:[0,0,1]
	v_pk_add_f32 v[26:27], v[28:29], v[22:23]
	v_mov_b32_e32 v15, v7
	v_pk_add_f32 v[40:41], v[44:45], v[14:15] neg_lo:[0,1] neg_hi:[0,1]
	v_pk_fma_f32 v[26:27], v[26:27], 0.5, v[18:19] op_sel_hi:[1,0,1] neg_lo:[1,0,0] neg_hi:[1,0,0]
	v_pk_mul_f32 v[42:43], v[40:41], s[0:1] op_sel_hi:[1,0]
	v_pk_add_f32 v[46:47], v[28:29], v[22:23] neg_lo:[0,1] neg_hi:[0,1]
	v_pk_add_f32 v[50:51], v[44:45], v[28:29] neg_lo:[0,1] neg_hi:[0,1]
	;; [unrolled: 1-line block ×3, first 2 shown]
	v_pk_add_f32 v[6:7], v[18:19], v[44:45]
	v_pk_mul_f32 v[48:49], v[46:47], s[18:19] op_sel_hi:[1,0]
	v_pk_add_f32 v[50:51], v[50:51], v[54:55]
	v_pk_add_f32 v[54:55], v[26:27], v[42:43] op_sel:[0,1] op_sel_hi:[1,0] neg_lo:[0,1] neg_hi:[0,1]
	v_pk_add_f32 v[26:27], v[26:27], v[42:43] op_sel:[0,1] op_sel_hi:[1,0]
	v_pk_add_f32 v[6:7], v[6:7], v[28:29]
	v_pk_add_f32 v[26:27], v[26:27], v[48:49] op_sel:[0,1] op_sel_hi:[1,0]
	v_pk_add_f32 v[42:43], v[54:55], v[48:49] op_sel:[0,1] op_sel_hi:[1,0] neg_lo:[0,1] neg_hi:[0,1]
	v_pk_add_f32 v[6:7], v[6:7], v[22:23]
	v_mov_b32_e32 v48, v42
	v_mov_b32_e32 v49, v27
	v_pk_add_f32 v[6:7], v[6:7], v[14:15]
	v_pk_fma_f32 v[48:49], v[50:51], s[14:15], v[48:49] op_sel_hi:[1,0,1]
	ds_write2_b64 v3, v[6:7], v[48:49] offset1:51
	v_pk_add_f32 v[6:7], v[44:45], v[14:15]
	v_pk_add_f32 v[14:15], v[22:23], v[14:15] neg_lo:[0,1] neg_hi:[0,1]
	v_pk_fma_f32 v[6:7], v[6:7], 0.5, v[18:19] op_sel_hi:[1,0,1] neg_lo:[1,0,0] neg_hi:[1,0,0]
	v_pk_add_f32 v[18:19], v[28:29], v[44:45] neg_lo:[0,1] neg_hi:[0,1]
	v_pk_mul_f32 v[22:23], v[40:41], s[18:19] op_sel_hi:[1,0]
	v_pk_add_f32 v[14:15], v[18:19], v[14:15]
	v_pk_mul_f32 v[18:19], v[46:47], s[0:1] op_sel_hi:[1,0]
	v_mov_b32_e32 v27, v43
	v_pk_add_f32 v[28:29], v[6:7], v[18:19] op_sel:[0,1] op_sel_hi:[1,0]
	v_pk_add_f32 v[6:7], v[6:7], v[18:19] op_sel:[0,1] op_sel_hi:[1,0] neg_lo:[0,1] neg_hi:[0,1]
	v_pk_add_f32 v[18:19], v[28:29], v[22:23] op_sel:[0,1] op_sel_hi:[1,0] neg_lo:[0,1] neg_hi:[0,1]
	v_pk_add_f32 v[6:7], v[6:7], v[22:23] op_sel:[0,1] op_sel_hi:[1,0]
	v_mov_b32_e32 v22, v18
	v_mov_b32_e32 v23, v7
	;; [unrolled: 1-line block ×3, first 2 shown]
	v_pk_fma_f32 v[22:23], v[14:15], s[14:15], v[22:23] op_sel_hi:[1,0,1]
	v_pk_fma_f32 v[6:7], v[14:15], s[14:15], v[6:7] op_sel_hi:[1,0,1]
	ds_write2_b64 v3, v[22:23], v[6:7] offset0:102 offset1:153
	v_pk_fma_f32 v[6:7], v[50:51], s[14:15], v[26:27] op_sel_hi:[1,0,1]
	ds_write_b64 v3, v[6:7] offset:1632
	v_pk_add_f32 v[6:7], v[52:53], v[24:25]
	v_pk_add_f32 v[14:15], v[62:63], v[16:17] neg_lo:[0,1] neg_hi:[0,1]
	v_pk_fma_f32 v[6:7], v[6:7], 0.5, v[20:21] op_sel_hi:[1,0,1] neg_lo:[1,0,0] neg_hi:[1,0,0]
	v_pk_mul_f32 v[18:19], v[14:15], s[0:1] op_sel_hi:[1,0]
	v_pk_add_f32 v[22:23], v[52:53], v[24:25] neg_lo:[0,1] neg_hi:[0,1]
	v_pk_add_f32 v[28:29], v[62:63], v[52:53] neg_lo:[0,1] neg_hi:[0,1]
	;; [unrolled: 1-line block ×3, first 2 shown]
	v_pk_mul_f32 v[26:27], v[22:23], s[18:19] op_sel_hi:[1,0]
	v_pk_add_f32 v[28:29], v[28:29], v[40:41]
	v_pk_add_f32 v[40:41], v[6:7], v[18:19] op_sel:[0,1] op_sel_hi:[1,0] neg_lo:[0,1] neg_hi:[0,1]
	v_pk_add_f32 v[6:7], v[6:7], v[18:19] op_sel:[0,1] op_sel_hi:[1,0]
	v_pk_add_f32 v[0:1], v[0:1], v[52:53]
	v_pk_add_f32 v[6:7], v[6:7], v[26:27] op_sel:[0,1] op_sel_hi:[1,0]
	v_pk_add_f32 v[18:19], v[40:41], v[26:27] op_sel:[0,1] op_sel_hi:[1,0] neg_lo:[0,1] neg_hi:[0,1]
	v_pk_add_f32 v[0:1], v[0:1], v[24:25]
	v_mov_b32_e32 v26, v18
	v_mov_b32_e32 v27, v7
	v_pk_add_f32 v[0:1], v[0:1], v[16:17]
	v_pk_fma_f32 v[26:27], v[28:29], s[14:15], v[26:27] op_sel_hi:[1,0,1]
	v_accvgpr_read_b32 v3, a21
	ds_write2_b64 v3, v[0:1], v[26:27] offset1:51
	v_pk_add_f32 v[0:1], v[62:63], v[16:17]
	v_pk_add_f32 v[16:17], v[24:25], v[16:17] neg_lo:[0,1] neg_hi:[0,1]
	v_pk_fma_f32 v[0:1], v[0:1], 0.5, v[20:21] op_sel_hi:[1,0,1] neg_lo:[1,0,0] neg_hi:[1,0,0]
	v_pk_add_f32 v[20:21], v[52:53], v[62:63] neg_lo:[0,1] neg_hi:[0,1]
	v_pk_mul_f32 v[14:15], v[14:15], s[18:19] op_sel_hi:[1,0]
	v_pk_add_f32 v[16:17], v[20:21], v[16:17]
	v_pk_mul_f32 v[20:21], v[22:23], s[0:1] op_sel_hi:[1,0]
	v_mov_b32_e32 v7, v19
	v_pk_add_f32 v[22:23], v[0:1], v[20:21] op_sel:[0,1] op_sel_hi:[1,0]
	v_pk_add_f32 v[0:1], v[0:1], v[20:21] op_sel:[0,1] op_sel_hi:[1,0] neg_lo:[0,1] neg_hi:[0,1]
	s_nop 0
	v_pk_add_f32 v[0:1], v[0:1], v[14:15] op_sel:[0,1] op_sel_hi:[1,0]
	v_pk_add_f32 v[14:15], v[22:23], v[14:15] op_sel:[0,1] op_sel_hi:[1,0] neg_lo:[0,1] neg_hi:[0,1]
	v_mov_b32_e32 v21, v1
	v_mov_b32_e32 v20, v14
	;; [unrolled: 1-line block ×3, first 2 shown]
	v_pk_fma_f32 v[20:21], v[16:17], s[14:15], v[20:21] op_sel_hi:[1,0,1]
	v_pk_fma_f32 v[0:1], v[16:17], s[14:15], v[0:1] op_sel_hi:[1,0,1]
	ds_write2_b64 v3, v[20:21], v[0:1] offset0:102 offset1:153
	v_pk_fma_f32 v[0:1], v[28:29], s[14:15], v[6:7] op_sel_hi:[1,0,1]
	ds_write_b64 v3, v[0:1] offset:1632
	v_pk_add_f32 v[0:1], v[4:5], v[30:31]
	v_mov_b32_e32 v3, v61
	v_pk_add_f32 v[0:1], v[0:1], v[32:33]
	v_pk_fma_f32 v[2:3], v[58:59], s[14:15], v[2:3] op_sel_hi:[1,0,1]
	v_pk_add_f32 v[0:1], v[0:1], v[12:13]
	v_accvgpr_read_b32 v14, a18
	v_pk_add_f32 v[0:1], v[0:1], v[34:35]
	ds_write2_b64 v14, v[0:1], v[2:3] offset1:51
	v_pk_add_f32 v[0:1], v[30:31], v[34:35]
	v_pk_add_f32 v[2:3], v[32:33], v[30:31] neg_lo:[0,1] neg_hi:[0,1]
	v_pk_fma_f32 v[0:1], v[0:1], 0.5, v[4:5] op_sel_hi:[1,0,1] neg_lo:[1,0,0] neg_hi:[1,0,0]
	v_pk_add_f32 v[4:5], v[12:13], v[34:35] neg_lo:[0,1] neg_hi:[0,1]
	s_nop 0
	v_pk_add_f32 v[2:3], v[2:3], v[4:5]
	v_pk_fma_f32 v[4:5], v[56:57], s[0:1], v[0:1] op_sel:[1,0,0] op_sel_hi:[0,0,1] neg_lo:[1,0,0] neg_hi:[1,0,0]
	v_pk_fma_f32 v[0:1], v[56:57], s[0:1], v[0:1] op_sel:[1,0,0] op_sel_hi:[0,0,1]
	v_pk_fma_f32 v[0:1], v[10:11], s[18:19], v[0:1] op_sel:[1,0,0] op_sel_hi:[0,0,1] neg_lo:[1,0,0] neg_hi:[1,0,0]
	v_pk_fma_f32 v[4:5], v[10:11], s[18:19], v[4:5] op_sel:[1,0,0] op_sel_hi:[0,0,1]
	v_mov_b32_e32 v6, v4
	v_mov_b32_e32 v7, v1
	;; [unrolled: 1-line block ×3, first 2 shown]
	v_pk_fma_f32 v[6:7], v[2:3], s[14:15], v[6:7] op_sel_hi:[1,0,1]
	v_pk_fma_f32 v[0:1], v[2:3], s[14:15], v[0:1] op_sel_hi:[1,0,1]
	ds_write2_b64 v14, v[0:1], v[6:7] offset0:102 offset1:153
	ds_write_b64 v14, v[64:65] offset:1632
	s_waitcnt lgkmcnt(0)
	s_barrier
	ds_read2_b64 v[12:15], v8 offset1:119
	ds_read2_b64 v[24:27], v91 offset0:127 offset1:246
	ds_read2_b64 v[16:19], v90 offset0:126 offset1:245
	;; [unrolled: 1-line block ×6, first 2 shown]
	s_mov_b64 s[0:1], exec
	s_and_b64 s[4:5], s[0:1], s[4:5]
	v_mov_b64_e32 v[96:97], v[66:67]
	s_xor_b64 s[0:1], s[4:5], s[0:1]
	v_mov_b64_e32 v[94:95], v[64:65]
	s_mov_b64 exec, s[4:5]
	s_andn2_saveexec_b64 s[0:1], s[0:1]
	s_cbranch_execz .LBB0_19
; %bb.18:
	v_add_u32_e32 v0, 0x1760, v8
	ds_read2_b64 v[136:139], v0 offset1:255
	v_add_u32_e32 v0, 0x2750, v8
	ds_read2_b64 v[140:143], v0 offset1:255
	v_add_u32_e32 v0, 0x770, v8
	ds_read_b64 v[148:149], v8 offset:14144
	ds_read2_b64 v[94:97], v0 offset1:255
	s_waitcnt lgkmcnt(3)
	v_mov_b32_e32 v144, v139
	s_waitcnt lgkmcnt(2)
	v_mov_b32_e32 v145, v143
	v_mov_b32_e32 v139, v142
	s_waitcnt lgkmcnt(1)
	v_mov_b32_e32 v143, v149
.LBB0_19:
	s_or_b64 exec, exec, s[0:1]
	v_accvgpr_read_b32 v89, a33
	v_accvgpr_read_b32 v87, a31
	;; [unrolled: 1-line block ×4, first 2 shown]
	s_waitcnt lgkmcnt(5)
	v_pk_mul_f32 v[0:1], v[86:87], v[24:25] op_sel_hi:[1,0]
	v_mov_b32_e32 v2, v25
	s_waitcnt lgkmcnt(3)
	v_pk_mul_f32 v[34:35], v[72:73], v[44:45] op_sel:[0,1] op_sel_hi:[1,0]
	s_waitcnt lgkmcnt(2)
	v_pk_mul_f32 v[50:51], v[74:75], v[40:41] op_sel:[0,1] op_sel_hi:[1,0]
	v_accvgpr_read_b32 v93, a37
	v_pk_mul_f32 v[4:5], v[88:89], v[16:17] op_sel_hi:[1,0]
	v_mov_b32_e32 v6, v17
	v_mov_b32_e32 v32, v73
	;; [unrolled: 1-line block ×5, first 2 shown]
	v_accvgpr_read_b32 v91, a35
	v_accvgpr_read_b32 v90, a34
	v_pk_fma_f32 v[2:3], v[86:87], v[2:3], v[0:1] op_sel:[0,0,1] op_sel_hi:[1,1,0] neg_lo:[0,0,1] neg_hi:[0,0,1]
	v_pk_fma_f32 v[0:1], v[86:87], v[24:25], v[0:1] op_sel:[0,1,1] op_sel_hi:[1,1,0]
	v_pk_mul_f32 v[10:11], v[72:73], v[44:45]
	v_pk_mul_f32 v[32:33], v[32:33], v[44:45] op_sel:[0,1] op_sel_hi:[1,0]
	v_pk_fma_f32 v[34:35], v[72:73], v[44:45], v[34:35] op_sel:[0,1,0] op_sel_hi:[1,0,1] neg_lo:[0,0,1] neg_hi:[0,0,1]
	v_pk_mul_f32 v[44:45], v[74:75], v[40:41]
	v_pk_mul_f32 v[48:49], v[48:49], v[40:41] op_sel:[0,1] op_sel_hi:[1,0]
	v_pk_fma_f32 v[40:41], v[74:75], v[40:41], v[50:51] op_sel:[0,1,0] op_sel_hi:[1,0,1] neg_lo:[0,0,1] neg_hi:[0,0,1]
	v_accvgpr_read_b32 v92, a36
	s_waitcnt lgkmcnt(1)
	v_pk_mul_f32 v[50:51], v[90:91], v[28:29] op_sel_hi:[1,0]
	v_mov_b32_e32 v52, v29
	v_mov_b32_e32 v3, v1
	v_pk_fma_f32 v[0:1], v[88:89], v[6:7], v[4:5] op_sel:[0,0,1] op_sel_hi:[1,1,0] neg_lo:[0,0,1] neg_hi:[0,0,1]
	v_pk_fma_f32 v[4:5], v[88:89], v[16:17], v[4:5] op_sel:[0,1,1] op_sel_hi:[1,1,0]
	s_waitcnt lgkmcnt(0)
	v_pk_mul_f32 v[54:55], v[92:93], v[20:21] op_sel_hi:[1,0]
	v_mov_b32_e32 v56, v21
	v_mov_b32_e32 v1, v5
	v_pk_fma_f32 v[4:5], v[90:91], v[52:53], v[50:51] op_sel:[0,0,1] op_sel_hi:[1,1,0] neg_lo:[0,0,1] neg_hi:[0,0,1]
	v_pk_fma_f32 v[6:7], v[90:91], v[28:29], v[50:51] op_sel:[0,1,1] op_sel_hi:[1,1,0]
	v_pk_fma_f32 v[16:17], v[92:93], v[20:21], v[54:55] op_sel:[0,1,1] op_sel_hi:[1,1,0]
	v_mov_b32_e32 v5, v7
	v_pk_fma_f32 v[6:7], v[92:93], v[56:57], v[54:55] op_sel:[0,0,1] op_sel_hi:[1,1,0] neg_lo:[0,0,1] neg_hi:[0,0,1]
	v_mov_b32_e32 v45, v2
	v_mov_b32_e32 v7, v17
	;; [unrolled: 1-line block ×5, first 2 shown]
	v_pk_add_f32 v[16:17], v[2:3], v[6:7]
	v_pk_add_f32 v[20:21], v[2:3], v[6:7] neg_lo:[0,1] neg_hi:[0,1]
	v_pk_add_f32 v[24:25], v[0:1], v[4:5]
	v_pk_add_f32 v[28:29], v[0:1], v[4:5] neg_lo:[0,1] neg_hi:[0,1]
	v_pk_add_f32 v[2:3], v[44:45], v[48:49]
	v_pk_add_f32 v[0:1], v[10:11], v[32:33]
	v_mov_b32_e32 v41, v2
	v_mov_b32_e32 v35, v0
	v_pk_add_f32 v[4:5], v[40:41], v[34:35] neg_lo:[0,1] neg_hi:[0,1]
	v_mov_b32_e32 v44, v25
	v_mov_b32_e32 v45, v34
	v_mov_b32_e32 v34, v17
	v_mov_b32_e32 v35, v40
	v_mov_b32_e32 v6, v4
	v_mov_b32_e32 v7, v21
	v_mov_b32_e32 v10, v28
	v_mov_b32_e32 v11, v5
	s_mov_b32 s4, 0x3f08b237
	v_pk_add_f32 v[34:35], v[44:45], v[34:35]
	v_pk_add_f32 v[40:41], v[0:1], v[2:3]
	s_mov_b32 s22, 0x3d64c772
	v_pk_add_f32 v[6:7], v[6:7], v[10:11] neg_lo:[0,1] neg_hi:[0,1]
	s_mov_b32 s5, 0xbeae86e6
	v_mov_b32_e32 v10, v20
	v_mov_b32_e32 v32, v4
	;; [unrolled: 1-line block ×8, first 2 shown]
	s_mov_b32 s23, 0x3f4a47b2
	v_pk_add_f32 v[10:11], v[10:11], v[32:33] neg_lo:[0,1] neg_hi:[0,1]
	s_mov_b32 s20, s5
	s_mov_b32 s21, s4
	v_pk_add_f32 v[44:45], v[2:3], v[44:45] neg_lo:[0,1] neg_hi:[0,1]
	v_pk_add_f32 v[48:49], v[48:49], v[0:1] neg_lo:[0,1] neg_hi:[0,1]
	s_mov_b32 s24, s23
	s_mov_b32 s25, s22
	v_pk_mul_f32 v[6:7], v[6:7], s[4:5]
	v_pk_mul_f32 v[32:33], v[10:11], s[20:21]
	v_pk_add_f32 v[4:5], v[4:5], v[28:29]
	v_pk_add_f32 v[34:35], v[34:35], v[40:41]
	v_pk_mul_f32 v[40:41], v[44:45], s[22:23]
	v_pk_mul_f32 v[44:45], v[48:49], s[24:25]
	v_mov_b32_e32 v0, v25
	v_mov_b32_e32 v2, v17
	v_pk_add_f32 v[4:5], v[4:5], v[20:21]
	v_pk_add_f32 v[12:13], v[12:13], v[34:35]
	s_mov_b32 s26, 0x3f955555
	v_pk_fma_f32 v[48:49], v[48:49], s[24:25], v[40:41]
	v_pk_fma_f32 v[10:11], v[10:11], s[20:21], v[6:7]
	v_pk_add_f32 v[20:21], v[28:29], v[20:21] neg_lo:[0,1] neg_hi:[0,1]
	s_mov_b32 s14, 0xbf5ff5aa
	v_pk_add_f32 v[0:1], v[0:1], v[2:3] neg_lo:[0,1] neg_hi:[0,1]
	s_mov_b32 s18, 0x3f3bfb3b
	v_mov_b32_e32 v2, v44
	v_mov_b32_e32 v3, v41
	;; [unrolled: 1-line block ×6, first 2 shown]
	s_mov_b32 s0, 0xbee1c552
	v_pk_fma_f32 v[34:35], v[34:35], s[26:27], v[12:13] op_sel_hi:[1,0,1] neg_lo:[1,0,0] neg_hi:[1,0,0]
	v_pk_fma_f32 v[2:3], v[0:1], s[18:19], v[2:3] op_sel_hi:[1,0,1] neg_lo:[1,0,1] neg_hi:[1,0,1]
	;; [unrolled: 1-line block ×5, first 2 shown]
	v_pk_fma_f32 v[10:11], v[4:5], s[0:1], v[10:11] op_sel_hi:[1,0,1]
	v_pk_fma_f32 v[16:17], v[4:5], s[0:1], v[16:17] op_sel_hi:[1,0,1]
	v_pk_add_f32 v[0:1], v[0:1], v[34:35]
	v_pk_fma_f32 v[4:5], v[4:5], s[0:1], v[6:7] op_sel_hi:[1,0,1]
	v_pk_mul_f32 v[58:59], v[36:37], v[26:27] op_sel_hi:[1,0]
	v_mov_b32_e32 v60, v27
	v_pk_mul_f32 v[70:71], v[76:77], v[46:47] op_sel:[0,1] op_sel_hi:[1,0]
	v_pk_mul_f32 v[74:75], v[78:79], v[42:43] op_sel:[0,1] op_sel_hi:[1,0]
	v_accvgpr_read_b32 v85, a25
	v_pk_add_f32 v[6:7], v[0:1], v[4:5] neg_lo:[0,1] neg_hi:[0,1]
	v_pk_add_f32 v[0:1], v[0:1], v[4:5]
	v_pk_mul_f32 v[62:63], v[38:39], v[18:19] op_sel_hi:[1,0]
	v_mov_b32_e32 v64, v19
	v_mov_b32_e32 v68, v77
	;; [unrolled: 1-line block ×5, first 2 shown]
	v_accvgpr_read_b32 v83, a23
	v_accvgpr_read_b32 v82, a22
	v_pk_add_f32 v[2:3], v[2:3], v[34:35]
	v_mov_b32_e32 v4, v6
	v_mov_b32_e32 v5, v1
	;; [unrolled: 1-line block ×3, first 2 shown]
	v_pk_fma_f32 v[6:7], v[36:37], v[60:61], v[58:59] op_sel:[0,0,1] op_sel_hi:[1,1,0] neg_lo:[0,0,1] neg_hi:[0,0,1]
	v_pk_fma_f32 v[20:21], v[36:37], v[26:27], v[58:59] op_sel:[0,1,1] op_sel_hi:[1,1,0]
	v_pk_mul_f32 v[66:67], v[76:77], v[46:47]
	v_pk_mul_f32 v[68:69], v[68:69], v[46:47] op_sel:[0,1] op_sel_hi:[1,0]
	v_pk_fma_f32 v[46:47], v[76:77], v[46:47], v[70:71] op_sel:[0,1,0] op_sel_hi:[1,0,1] neg_lo:[0,0,1] neg_hi:[0,0,1]
	v_pk_mul_f32 v[70:71], v[78:79], v[42:43]
	v_pk_mul_f32 v[72:73], v[72:73], v[42:43] op_sel:[0,1] op_sel_hi:[1,0]
	v_pk_fma_f32 v[42:43], v[78:79], v[42:43], v[74:75] op_sel:[0,1,0] op_sel_hi:[1,0,1] neg_lo:[0,0,1] neg_hi:[0,0,1]
	v_accvgpr_read_b32 v84, a24
	v_pk_mul_f32 v[74:75], v[82:83], v[30:31] op_sel_hi:[1,0]
	v_mov_b32_e32 v76, v31
	v_pk_add_f32 v[24:25], v[2:3], v[16:17]
	v_pk_add_f32 v[2:3], v[2:3], v[16:17] neg_lo:[0,1] neg_hi:[0,1]
	v_mov_b32_e32 v7, v21
	v_pk_fma_f32 v[20:21], v[38:39], v[64:65], v[62:63] op_sel:[0,0,1] op_sel_hi:[1,1,0] neg_lo:[0,0,1] neg_hi:[0,0,1]
	v_pk_fma_f32 v[18:19], v[38:39], v[18:19], v[62:63] op_sel:[0,1,1] op_sel_hi:[1,1,0]
	v_pk_mul_f32 v[78:79], v[84:85], v[22:23] op_sel_hi:[1,0]
	v_mov_b32_e32 v80, v23
	v_mov_b32_e32 v16, v24
	;; [unrolled: 1-line block ×5, first 2 shown]
	v_pk_fma_f32 v[18:19], v[82:83], v[76:77], v[74:75] op_sel:[0,0,1] op_sel_hi:[1,1,0] neg_lo:[0,0,1] neg_hi:[0,0,1]
	v_pk_fma_f32 v[24:25], v[82:83], v[30:31], v[74:75] op_sel:[0,1,1] op_sel_hi:[1,1,0]
	v_pk_fma_f32 v[22:23], v[84:85], v[22:23], v[78:79] op_sel:[0,1,1] op_sel_hi:[1,1,0]
	v_mov_b32_e32 v19, v25
	v_pk_fma_f32 v[24:25], v[84:85], v[80:81], v[78:79] op_sel:[0,0,1] op_sel_hi:[1,1,0] neg_lo:[0,0,1] neg_hi:[0,0,1]
	v_mov_b32_e32 v71, v6
	v_mov_b32_e32 v25, v23
	;; [unrolled: 1-line block ×5, first 2 shown]
	v_pk_add_f32 v[22:23], v[6:7], v[24:25]
	v_pk_add_f32 v[26:27], v[6:7], v[24:25] neg_lo:[0,1] neg_hi:[0,1]
	v_pk_add_f32 v[28:29], v[20:21], v[18:19]
	v_pk_add_f32 v[30:31], v[20:21], v[18:19] neg_lo:[0,1] neg_hi:[0,1]
	v_pk_add_f32 v[6:7], v[70:71], v[72:73]
	v_pk_add_f32 v[18:19], v[66:67], v[68:69]
	v_mov_b32_e32 v43, v6
	v_mov_b32_e32 v47, v18
	;; [unrolled: 1-line block ×6, first 2 shown]
	v_pk_add_f32 v[20:21], v[42:43], v[46:47] neg_lo:[0,1] neg_hi:[0,1]
	v_pk_add_f32 v[36:37], v[36:37], v[38:39]
	v_pk_add_f32 v[38:39], v[18:19], v[6:7]
	v_mov_b32_e32 v24, v20
	v_mov_b32_e32 v25, v27
	;; [unrolled: 1-line block ×7, first 2 shown]
	v_pk_add_f32 v[48:49], v[48:49], v[34:35]
	v_pk_add_f32 v[24:25], v[24:25], v[32:33] neg_lo:[0,1] neg_hi:[0,1]
	v_mov_b32_e32 v32, v26
	v_mov_b32_e32 v34, v20
	;; [unrolled: 1-line block ×3, first 2 shown]
	v_pk_add_f32 v[40:41], v[6:7], v[40:41] neg_lo:[0,1] neg_hi:[0,1]
	v_mov_b32_e32 v42, v23
	v_mov_b32_e32 v43, v37
	;; [unrolled: 1-line block ×3, first 2 shown]
	v_pk_add_f32 v[36:37], v[36:37], v[38:39]
	v_pk_mul_f32 v[24:25], v[24:25], s[4:5]
	v_pk_add_f32 v[32:33], v[32:33], v[34:35] neg_lo:[0,1] neg_hi:[0,1]
	v_pk_add_f32 v[20:21], v[20:21], v[30:31]
	v_pk_add_f32 v[42:43], v[42:43], v[18:19] neg_lo:[0,1] neg_hi:[0,1]
	v_pk_add_f32 v[14:15], v[14:15], v[36:37]
	v_pk_mul_f32 v[38:39], v[40:41], s[22:23]
	v_pk_mul_f32 v[34:35], v[32:33], s[20:21]
	v_pk_add_f32 v[20:21], v[20:21], v[26:27]
	v_pk_mul_f32 v[40:41], v[42:43], s[24:25]
	v_pk_fma_f32 v[36:37], v[36:37], s[26:27], v[14:15] op_sel_hi:[1,0,1] neg_lo:[1,0,0] neg_hi:[1,0,0]
	v_pk_fma_f32 v[42:43], v[42:43], s[24:25], v[38:39]
	v_pk_fma_f32 v[32:33], v[32:33], s[20:21], v[24:25]
	v_pk_add_f32 v[42:43], v[42:43], v[36:37]
	v_pk_fma_f32 v[32:33], v[20:21], s[0:1], v[32:33] op_sel_hi:[1,0,1]
	v_pk_add_f32 v[50:51], v[48:49], v[10:11]
	v_pk_add_f32 v[10:11], v[48:49], v[10:11] neg_lo:[0,1] neg_hi:[0,1]
	v_pk_add_f32 v[44:45], v[42:43], v[32:33]
	v_pk_add_f32 v[32:33], v[42:43], v[32:33] neg_lo:[0,1] neg_hi:[0,1]
	v_mov_b32_e32 v48, v50
	v_mov_b32_e32 v49, v11
	ds_write2_b64 v8, v[12:13], v[14:15] offset1:119
	v_mov_b32_e32 v12, v44
	v_mov_b32_e32 v13, v33
	v_add_u32_e32 v6, 0x400, v8
	ds_write2_b64 v6, v[48:49], v[12:13] offset0:127 offset1:246
	v_mov_b32_e32 v18, v29
	v_mov_b32_e32 v6, v23
	v_pk_add_f32 v[12:13], v[30:31], v[26:27] neg_lo:[0,1] neg_hi:[0,1]
	v_pk_add_f32 v[6:7], v[18:19], v[6:7] neg_lo:[0,1] neg_hi:[0,1]
	v_mov_b32_e32 v14, v40
	v_mov_b32_e32 v15, v39
	v_mov_b32_e32 v18, v34
	v_mov_b32_e32 v19, v25
	v_pk_fma_f32 v[14:15], v[6:7], s[18:19], v[14:15] op_sel_hi:[1,0,1] neg_lo:[1,0,1] neg_hi:[1,0,1]
	v_pk_fma_f32 v[18:19], v[12:13], s[14:15], v[18:19] op_sel_hi:[1,0,1] neg_lo:[1,0,1] neg_hi:[1,0,1]
	v_pk_add_f32 v[14:15], v[14:15], v[36:37]
	v_pk_fma_f32 v[18:19], v[20:21], s[0:1], v[18:19] op_sel_hi:[1,0,1]
	v_mov_b32_e32 v39, v41
	v_mov_b32_e32 v25, v35
	v_pk_add_f32 v[22:23], v[14:15], v[18:19]
	v_pk_add_f32 v[14:15], v[14:15], v[18:19] neg_lo:[0,1] neg_hi:[0,1]
	v_pk_fma_f32 v[6:7], v[6:7], s[18:19], v[38:39] op_sel_hi:[1,0,1] neg_lo:[0,0,1] neg_hi:[0,0,1]
	v_pk_fma_f32 v[12:13], v[12:13], s[14:15], v[24:25] op_sel_hi:[1,0,1] neg_lo:[0,0,1] neg_hi:[0,0,1]
	v_mov_b32_e32 v18, v22
	v_mov_b32_e32 v19, v15
	v_add_u32_e32 v9, 0xc00, v8
	v_pk_add_f32 v[6:7], v[6:7], v[36:37]
	v_pk_fma_f32 v[12:13], v[20:21], s[0:1], v[12:13] op_sel_hi:[1,0,1]
	ds_write2_b64 v9, v[16:17], v[18:19] offset0:126 offset1:245
	v_pk_add_f32 v[16:17], v[6:7], v[12:13] neg_lo:[0,1] neg_hi:[0,1]
	v_pk_add_f32 v[6:7], v[6:7], v[12:13]
	v_mov_b32_e32 v12, v16
	v_mov_b32_e32 v13, v7
	v_add_u32_e32 v7, 0x1400, v8
	ds_write2_b64 v7, v[4:5], v[12:13] offset0:125 offset1:244
	v_mov_b32_e32 v7, v17
	v_add_u32_e32 v4, 0x1c00, v8
	ds_write2_b64 v4, v[0:1], v[6:7] offset0:124 offset1:243
	v_mov_b32_e32 v15, v23
	v_add_u32_e32 v0, 0x2400, v8
	v_mov_b32_e32 v11, v51
	ds_write2_b64 v0, v[2:3], v[14:15] offset0:123 offset1:242
	v_mov_b32_e32 v33, v45
	v_add_u32_e32 v0, 0x2c00, v8
	ds_write2_b64 v0, v[10:11], v[32:33] offset0:122 offset1:241
	s_and_saveexec_b64 s[26:27], s[2:3]
	s_cbranch_execz .LBB0_21
; %bb.20:
	v_accvgpr_read_b32 v29, a7
	v_accvgpr_read_b32 v33, a11
	v_accvgpr_read_b32 v28, a6
	v_accvgpr_read_b32 v31, a9
	v_accvgpr_read_b32 v30, a8
	v_pk_mul_f32 v[2:3], v[28:29], v[148:149] op_sel_hi:[1,0]
	v_mov_b32_e32 v4, v143
	v_mov_b32_e32 v6, v143
	v_accvgpr_read_b32 v37, a15
	v_pk_mul_f32 v[0:1], v[30:31], v[96:97] op_sel_hi:[1,0]
	v_accvgpr_read_b32 v27, a5
	v_accvgpr_read_b32 v26, a4
	;; [unrolled: 1-line block ×3, first 2 shown]
	v_pk_fma_f32 v[4:5], v[28:29], v[4:5], v[2:3] op_sel:[0,0,1] op_sel_hi:[1,1,0] neg_lo:[0,0,1] neg_hi:[0,0,1]
	v_pk_fma_f32 v[2:3], v[28:29], v[6:7], v[2:3] op_sel:[0,0,1] op_sel_hi:[1,0,0]
	v_accvgpr_read_b32 v32, a10
	v_accvgpr_read_b32 v35, a13
	v_pk_mul_f32 v[10:11], v[36:37], v[140:141]
	v_accvgpr_read_b32 v37, a29
	v_pk_mul_f32 v[22:23], v[26:27], v[138:139] op_sel:[0,1]
	v_mov_b32_e32 v5, v3
	v_pk_fma_f32 v[2:3], v[30:31], v[96:97], v[0:1] op_sel:[0,1,1] op_sel_hi:[1,1,0] neg_lo:[0,0,1] neg_hi:[0,0,1]
	v_pk_fma_f32 v[0:1], v[30:31], v[96:97], v[0:1] op_sel:[0,1,1] op_sel_hi:[1,1,0]
	v_accvgpr_read_b32 v34, a12
	v_mov_b32_e32 v12, v141
	v_accvgpr_read_b32 v36, a28
	v_mov_b32_e32 v16, v35
	v_pk_mul_f32 v[20:21], v[32:33], v[136:137] op_sel_hi:[1,0]
	v_mov_b32_e32 v3, v1
	v_pk_fma_f32 v[0:1], v[26:27], v[144:145], v[22:23] op_sel:[0,1,1] op_sel_hi:[1,1,0] neg_lo:[0,0,1] neg_hi:[0,0,1]
	v_pk_fma_f32 v[6:7], v[26:27], v[144:145], v[22:23] op_sel:[0,1,1] op_sel_hi:[1,1,0]
	v_pk_mul_f32 v[12:13], v[36:37], v[12:13]
	v_pk_mul_f32 v[14:15], v[34:35], v[138:139]
	;; [unrolled: 1-line block ×4, first 2 shown]
	v_mov_b32_e32 v1, v7
	v_pk_fma_f32 v[6:7], v[32:33], v[136:137], v[20:21] op_sel:[0,1,1] op_sel_hi:[1,1,0] neg_lo:[0,0,1] neg_hi:[0,0,1]
	v_pk_fma_f32 v[20:21], v[32:33], v[136:137], v[20:21] op_sel:[0,1,1] op_sel_hi:[1,1,0]
	v_pk_mul_f32 v[16:17], v[16:17], v[138:139]
	v_mov_b32_e32 v24, v25
	v_mov_b32_e32 v7, v21
	;; [unrolled: 1-line block ×6, first 2 shown]
	v_pk_fma_f32 v[16:17], v[34:35], v[144:145], v[16:17] neg_lo:[0,0,1] neg_hi:[0,0,1]
	v_pk_fma_f32 v[24:25], v[36:37], v[140:141], v[24:25] neg_lo:[1,0,0] neg_hi:[1,0,0]
	v_pk_add_f32 v[20:21], v[4:5], v[2:3]
	v_pk_add_f32 v[22:23], v[0:1], v[6:7]
	v_pk_add_f32 v[26:27], v[2:3], v[4:5] neg_lo:[0,1] neg_hi:[0,1]
	v_pk_add_f32 v[28:29], v[6:7], v[0:1] neg_lo:[0,1] neg_hi:[0,1]
	v_pk_add_f32 v[2:3], v[10:11], v[12:13]
	v_pk_add_f32 v[0:1], v[14:15], v[18:19]
	v_mov_b32_e32 v25, v2
	v_mov_b32_e32 v17, v0
	v_pk_add_f32 v[4:5], v[24:25], v[16:17] neg_lo:[0,1] neg_hi:[0,1]
	v_mov_b32_e32 v15, v27
	v_mov_b32_e32 v10, v4
	v_pk_add_f32 v[12:13], v[4:5], v[28:29]
	v_mov_b32_e32 v14, v4
	v_mov_b32_e32 v4, v28
	;; [unrolled: 1-line block ×3, first 2 shown]
	v_pk_add_f32 v[4:5], v[14:15], v[4:5] neg_lo:[0,1] neg_hi:[0,1]
	v_mov_b32_e32 v14, v23
	v_mov_b32_e32 v15, v16
	;; [unrolled: 1-line block ×4, first 2 shown]
	v_pk_add_f32 v[14:15], v[14:15], v[16:17]
	v_pk_add_f32 v[16:17], v[0:1], v[2:3]
	v_mov_b32_e32 v6, v26
	v_pk_add_f32 v[18:19], v[14:15], v[16:17]
	v_mov_b32_e32 v14, v21
	v_mov_b32_e32 v17, v1
	v_pk_add_f32 v[30:31], v[14:15], v[16:17] neg_lo:[0,1] neg_hi:[0,1]
	v_mov_b32_e32 v17, v3
	v_mov_b32_e32 v14, v23
	;; [unrolled: 1-line block ×3, first 2 shown]
	v_pk_add_f32 v[14:15], v[16:17], v[14:15] neg_lo:[0,1] neg_hi:[0,1]
	v_pk_add_f32 v[6:7], v[6:7], v[10:11] neg_lo:[0,1] neg_hi:[0,1]
	v_pk_mul_f32 v[4:5], v[4:5], s[4:5]
	v_pk_add_f32 v[24:25], v[94:95], v[18:19]
	v_pk_mul_f32 v[14:15], v[14:15], s[22:23]
	s_mov_b32 s2, 0xbf955555
	v_pk_mul_f32 v[10:11], v[6:7], s[20:21]
	v_pk_add_f32 v[12:13], v[12:13], v[26:27]
	v_pk_fma_f32 v[6:7], v[6:7], s[20:21], v[4:5]
	v_pk_fma_f32 v[16:17], v[30:31], s[24:25], v[14:15]
	v_pk_fma_f32 v[18:19], v[18:19], s[2:3], v[24:25] op_sel_hi:[1,0,1]
	v_pk_fma_f32 v[6:7], v[12:13], s[0:1], v[6:7] op_sel_hi:[1,0,1]
	v_pk_add_f32 v[16:17], v[16:17], v[18:19]
	v_pk_mul_f32 v[32:33], v[30:31], s[24:25]
	v_pk_add_f32 v[30:31], v[16:17], v[6:7]
	v_pk_add_f32 v[6:7], v[16:17], v[6:7] neg_lo:[0,1] neg_hi:[0,1]
	v_mov_b32_e32 v16, v30
	v_mov_b32_e32 v17, v7
	v_add_u32_e32 v0, 0x770, v8
	ds_write2_b64 v0, v[24:25], v[16:17] offset1:255
	v_mov_b32_e32 v0, v23
	v_mov_b32_e32 v2, v21
	v_pk_add_f32 v[16:17], v[28:29], v[26:27] neg_lo:[0,1] neg_hi:[0,1]
	v_mov_b32_e32 v24, v10
	v_mov_b32_e32 v25, v5
	v_pk_add_f32 v[0:1], v[0:1], v[2:3] neg_lo:[0,1] neg_hi:[0,1]
	v_mov_b32_e32 v2, v32
	v_mov_b32_e32 v3, v15
	;; [unrolled: 1-line block ×4, first 2 shown]
	v_pk_fma_f32 v[24:25], v[16:17], s[14:15], v[24:25] op_sel_hi:[1,0,1] neg_lo:[1,0,1] neg_hi:[1,0,1]
	v_pk_fma_f32 v[2:3], v[0:1], s[18:19], v[2:3] op_sel_hi:[1,0,1] neg_lo:[1,0,1] neg_hi:[1,0,1]
	;; [unrolled: 1-line block ×4, first 2 shown]
	v_pk_fma_f32 v[24:25], v[12:13], s[0:1], v[24:25] op_sel_hi:[1,0,1]
	v_pk_add_f32 v[2:3], v[2:3], v[18:19]
	v_pk_fma_f32 v[4:5], v[12:13], s[0:1], v[4:5] op_sel_hi:[1,0,1]
	v_pk_add_f32 v[0:1], v[0:1], v[18:19]
	v_pk_add_f32 v[20:21], v[2:3], v[24:25]
	v_pk_add_f32 v[2:3], v[2:3], v[24:25] neg_lo:[0,1] neg_hi:[0,1]
	v_pk_add_f32 v[10:11], v[0:1], v[4:5] neg_lo:[0,1] neg_hi:[0,1]
	v_pk_add_f32 v[0:1], v[0:1], v[4:5]
	v_mov_b32_e32 v22, v20
	v_mov_b32_e32 v23, v3
	;; [unrolled: 1-line block ×4, first 2 shown]
	v_add_u32_e32 v1, 0x1760, v8
	ds_write2_b64 v1, v[22:23], v[4:5] offset1:255
	v_mov_b32_e32 v1, v11
	v_mov_b32_e32 v3, v21
	v_add_u32_e32 v4, 0x2750, v8
	v_mov_b32_e32 v7, v31
	ds_write2_b64 v4, v[0:1], v[2:3] offset1:255
	ds_write_b64 v8, v[6:7] offset:14144
.LBB0_21:
	s_or_b64 exec, exec, s[26:27]
	s_waitcnt lgkmcnt(0)
	s_barrier
	s_and_b64 exec, exec, s[6:7]
	s_cbranch_execz .LBB0_23
; %bb.22:
	global_load_dwordx2 v[0:1], v122, s[12:13]
	v_accvgpr_read_b32 v14, a2
	v_mad_u64_u32 v[4:5], s[0:1], s10, v14, 0
	ds_read_b64 v[6:7], v8
	v_mad_u64_u32 v[8:9], s[2:3], s8, v196, 0
	v_mov_b32_e32 v10, v5
	v_mov_b32_e32 v12, v9
	v_mad_u64_u32 v[10:11], s[2:3], s11, v14, v[10:11]
	v_mov_b32_e32 v2, s16
	v_mov_b32_e32 v3, s17
	v_mad_u64_u32 v[12:13], s[2:3], s9, v196, v[12:13]
	v_mov_b32_e32 v5, v10
	v_mov_b32_e32 v9, v12
	v_lshl_add_u64 v[2:3], v[4:5], 3, v[2:3]
	v_lshl_add_u64 v[4:5], v[8:9], 3, v[2:3]
	s_mov_b32 s0, 0x125b8012
	s_mov_b32 s1, 0x3f425b80
	v_mov_b32_e32 v12, 0x348
	s_mul_i32 s2, s9, 0x348
	v_mov_b32_e32 v123, 0
	s_movk_i32 s3, 0x1000
	s_waitcnt vmcnt(0) lgkmcnt(0)
	v_mul_f32_e32 v2, v7, v1
	v_mul_f32_e32 v1, v6, v1
	v_fmac_f32_e32 v2, v6, v0
	v_fma_f32 v3, v0, v7, -v1
	v_cvt_f64_f32_e32 v[0:1], v2
	v_cvt_f64_f32_e32 v[2:3], v3
	v_mul_f64 v[0:1], v[0:1], s[0:1]
	v_mul_f64 v[2:3], v[2:3], s[0:1]
	v_cvt_f32_f64_e32 v0, v[0:1]
	v_cvt_f32_f64_e32 v1, v[2:3]
	global_store_dwordx2 v[4:5], v[0:1], off
	global_load_dwordx2 v[6:7], v122, s[12:13] offset:840
	ds_read2_b64 v[0:3], v122 offset0:105 offset1:210
	v_mad_u64_u32 v[4:5], s[4:5], s8, v12, v[4:5]
	v_add_u32_e32 v5, s2, v5
	s_waitcnt vmcnt(0) lgkmcnt(0)
	v_mul_f32_e32 v8, v1, v7
	v_mul_f32_e32 v7, v0, v7
	v_fmac_f32_e32 v8, v0, v6
	v_fma_f32 v6, v6, v1, -v7
	v_cvt_f64_f32_e32 v[0:1], v8
	v_cvt_f64_f32_e32 v[6:7], v6
	v_mul_f64 v[0:1], v[0:1], s[0:1]
	v_mul_f64 v[6:7], v[6:7], s[0:1]
	v_cvt_f32_f64_e32 v0, v[0:1]
	v_cvt_f32_f64_e32 v1, v[6:7]
	global_store_dwordx2 v[4:5], v[0:1], off
	global_load_dwordx2 v[0:1], v122, s[12:13] offset:1680
	v_mad_u64_u32 v[4:5], s[4:5], s8, v12, v[4:5]
	v_add_u32_e32 v5, s2, v5
	s_waitcnt vmcnt(0)
	v_mul_f32_e32 v6, v3, v1
	v_mul_f32_e32 v1, v2, v1
	v_fmac_f32_e32 v6, v2, v0
	v_fma_f32 v2, v0, v3, -v1
	v_cvt_f64_f32_e32 v[0:1], v6
	v_cvt_f64_f32_e32 v[2:3], v2
	v_mul_f64 v[0:1], v[0:1], s[0:1]
	v_mul_f64 v[2:3], v[2:3], s[0:1]
	v_cvt_f32_f64_e32 v0, v[0:1]
	v_cvt_f32_f64_e32 v1, v[2:3]
	global_store_dwordx2 v[4:5], v[0:1], off
	global_load_dwordx2 v[6:7], v122, s[12:13] offset:2520
	v_add_u32_e32 v0, 0x800, v122
	ds_read2_b64 v[0:3], v0 offset0:59 offset1:164
	v_mad_u64_u32 v[4:5], s[4:5], s8, v12, v[4:5]
	v_add_u32_e32 v5, s2, v5
	v_mad_u64_u32 v[10:11], s[4:5], s8, v12, v[4:5]
	v_add_u32_e32 v11, s2, v11
	s_waitcnt vmcnt(0) lgkmcnt(0)
	v_mul_f32_e32 v8, v1, v7
	v_mul_f32_e32 v7, v0, v7
	v_fmac_f32_e32 v8, v0, v6
	v_fma_f32 v6, v6, v1, -v7
	v_cvt_f64_f32_e32 v[0:1], v8
	v_cvt_f64_f32_e32 v[6:7], v6
	v_mul_f64 v[0:1], v[0:1], s[0:1]
	v_mul_f64 v[6:7], v[6:7], s[0:1]
	v_cvt_f32_f64_e32 v0, v[0:1]
	v_cvt_f32_f64_e32 v1, v[6:7]
	global_store_dwordx2 v[4:5], v[0:1], off
	global_load_dwordx2 v[6:7], v122, s[12:13] offset:3360
	v_lshl_add_u64 v[0:1], s[12:13], 0, v[122:123]
	v_add_co_u32_e32 v8, vcc, s3, v0
	s_movk_i32 s3, 0x2000
	s_nop 0
	v_addc_co_u32_e32 v9, vcc, 0, v1, vcc
	s_waitcnt vmcnt(0)
	v_mul_f32_e32 v4, v3, v7
	v_mul_f32_e32 v5, v2, v7
	v_fmac_f32_e32 v4, v2, v6
	v_fma_f32 v5, v6, v3, -v5
	v_cvt_f64_f32_e32 v[2:3], v4
	v_cvt_f64_f32_e32 v[4:5], v5
	v_mul_f64 v[2:3], v[2:3], s[0:1]
	v_mul_f64 v[4:5], v[4:5], s[0:1]
	v_cvt_f32_f64_e32 v2, v[2:3]
	v_cvt_f32_f64_e32 v3, v[4:5]
	global_store_dwordx2 v[10:11], v[2:3], off
	global_load_dwordx2 v[6:7], v[8:9], off offset:104
	v_add_u32_e32 v2, 0x1000, v122
	ds_read2_b64 v[2:5], v2 offset0:13 offset1:118
	v_mad_u64_u32 v[10:11], s[4:5], s8, v12, v[10:11]
	v_add_u32_e32 v11, s2, v11
	s_waitcnt vmcnt(0) lgkmcnt(0)
	v_mul_f32_e32 v13, v3, v7
	v_mul_f32_e32 v7, v2, v7
	v_fmac_f32_e32 v13, v2, v6
	v_fma_f32 v6, v6, v3, -v7
	v_cvt_f64_f32_e32 v[2:3], v13
	v_cvt_f64_f32_e32 v[6:7], v6
	v_mul_f64 v[2:3], v[2:3], s[0:1]
	v_mul_f64 v[6:7], v[6:7], s[0:1]
	v_cvt_f32_f64_e32 v2, v[2:3]
	v_cvt_f32_f64_e32 v3, v[6:7]
	global_store_dwordx2 v[10:11], v[2:3], off
	global_load_dwordx2 v[2:3], v[8:9], off offset:944
	v_mad_u64_u32 v[6:7], s[4:5], s8, v12, v[10:11]
	v_add_u32_e32 v7, s2, v7
	s_waitcnt vmcnt(0)
	v_mul_f32_e32 v10, v5, v3
	v_mul_f32_e32 v3, v4, v3
	v_fmac_f32_e32 v10, v4, v2
	v_fma_f32 v4, v2, v5, -v3
	v_cvt_f64_f32_e32 v[2:3], v10
	v_cvt_f64_f32_e32 v[4:5], v4
	v_mul_f64 v[2:3], v[2:3], s[0:1]
	v_mul_f64 v[4:5], v[4:5], s[0:1]
	v_cvt_f32_f64_e32 v2, v[2:3]
	v_cvt_f32_f64_e32 v3, v[4:5]
	global_store_dwordx2 v[6:7], v[2:3], off
	global_load_dwordx2 v[10:11], v[8:9], off offset:1784
	v_add_u32_e32 v2, 0x1400, v122
	ds_read2_b64 v[2:5], v2 offset0:95 offset1:200
	v_mad_u64_u32 v[6:7], s[4:5], s8, v12, v[6:7]
	v_add_u32_e32 v7, s2, v7
	s_waitcnt vmcnt(0) lgkmcnt(0)
	v_mul_f32_e32 v13, v3, v11
	v_mul_f32_e32 v11, v2, v11
	v_fmac_f32_e32 v13, v2, v10
	v_fma_f32 v10, v10, v3, -v11
	v_cvt_f64_f32_e32 v[2:3], v13
	v_cvt_f64_f32_e32 v[10:11], v10
	v_mul_f64 v[2:3], v[2:3], s[0:1]
	v_mul_f64 v[10:11], v[10:11], s[0:1]
	v_cvt_f32_f64_e32 v2, v[2:3]
	v_cvt_f32_f64_e32 v3, v[10:11]
	global_store_dwordx2 v[6:7], v[2:3], off
	global_load_dwordx2 v[2:3], v[8:9], off offset:2624
	v_mad_u64_u32 v[6:7], s[4:5], s8, v12, v[6:7]
	v_add_u32_e32 v7, s2, v7
	s_waitcnt vmcnt(0)
	v_mul_f32_e32 v10, v5, v3
	v_mul_f32_e32 v3, v4, v3
	v_fmac_f32_e32 v10, v4, v2
	v_fma_f32 v4, v2, v5, -v3
	v_cvt_f64_f32_e32 v[2:3], v10
	v_cvt_f64_f32_e32 v[4:5], v4
	v_mul_f64 v[2:3], v[2:3], s[0:1]
	v_mul_f64 v[4:5], v[4:5], s[0:1]
	v_cvt_f32_f64_e32 v2, v[2:3]
	v_cvt_f32_f64_e32 v3, v[4:5]
	global_store_dwordx2 v[6:7], v[2:3], off
	global_load_dwordx2 v[8:9], v[8:9], off offset:3464
	v_add_u32_e32 v2, 0x1c00, v122
	ds_read2_b64 v[2:5], v2 offset0:49 offset1:154
	v_mad_u64_u32 v[6:7], s[4:5], s8, v12, v[6:7]
	v_add_co_u32_e32 v10, vcc, s3, v0
	v_add_u32_e32 v7, s2, v7
	s_nop 0
	v_addc_co_u32_e32 v11, vcc, 0, v1, vcc
	s_movk_i32 s3, 0x3000
	s_waitcnt vmcnt(0) lgkmcnt(0)
	v_mul_f32_e32 v13, v3, v9
	v_mul_f32_e32 v9, v2, v9
	v_fmac_f32_e32 v13, v2, v8
	v_fma_f32 v8, v8, v3, -v9
	v_cvt_f64_f32_e32 v[2:3], v13
	v_cvt_f64_f32_e32 v[8:9], v8
	v_mul_f64 v[2:3], v[2:3], s[0:1]
	v_mul_f64 v[8:9], v[8:9], s[0:1]
	v_cvt_f32_f64_e32 v2, v[2:3]
	v_cvt_f32_f64_e32 v3, v[8:9]
	global_store_dwordx2 v[6:7], v[2:3], off
	global_load_dwordx2 v[2:3], v[10:11], off offset:208
	v_mad_u64_u32 v[6:7], s[4:5], s8, v12, v[6:7]
	v_add_u32_e32 v7, s2, v7
	s_waitcnt vmcnt(0)
	v_mul_f32_e32 v8, v5, v3
	v_mul_f32_e32 v3, v4, v3
	v_fmac_f32_e32 v8, v4, v2
	v_fma_f32 v4, v2, v5, -v3
	v_cvt_f64_f32_e32 v[2:3], v8
	v_cvt_f64_f32_e32 v[4:5], v4
	v_mul_f64 v[2:3], v[2:3], s[0:1]
	v_mul_f64 v[4:5], v[4:5], s[0:1]
	v_cvt_f32_f64_e32 v2, v[2:3]
	v_cvt_f32_f64_e32 v3, v[4:5]
	global_store_dwordx2 v[6:7], v[2:3], off
	global_load_dwordx2 v[8:9], v[10:11], off offset:1048
	v_add_u32_e32 v2, 0x2000, v122
	ds_read2_b64 v[2:5], v2 offset0:131 offset1:236
	v_mad_u64_u32 v[6:7], s[4:5], s8, v12, v[6:7]
	v_add_u32_e32 v7, s2, v7
	s_waitcnt vmcnt(0) lgkmcnt(0)
	v_mul_f32_e32 v13, v3, v9
	v_mul_f32_e32 v9, v2, v9
	v_fmac_f32_e32 v13, v2, v8
	v_fma_f32 v8, v8, v3, -v9
	v_cvt_f64_f32_e32 v[2:3], v13
	v_cvt_f64_f32_e32 v[8:9], v8
	v_mul_f64 v[2:3], v[2:3], s[0:1]
	v_mul_f64 v[8:9], v[8:9], s[0:1]
	v_cvt_f32_f64_e32 v2, v[2:3]
	v_cvt_f32_f64_e32 v3, v[8:9]
	global_store_dwordx2 v[6:7], v[2:3], off
	global_load_dwordx2 v[2:3], v[10:11], off offset:1888
	v_mad_u64_u32 v[6:7], s[4:5], s8, v12, v[6:7]
	v_add_u32_e32 v7, s2, v7
	s_waitcnt vmcnt(0)
	v_mul_f32_e32 v8, v5, v3
	v_mul_f32_e32 v3, v4, v3
	v_fmac_f32_e32 v8, v4, v2
	v_fma_f32 v4, v2, v5, -v3
	v_cvt_f64_f32_e32 v[2:3], v8
	v_cvt_f64_f32_e32 v[4:5], v4
	v_mul_f64 v[2:3], v[2:3], s[0:1]
	v_mul_f64 v[4:5], v[4:5], s[0:1]
	v_cvt_f32_f64_e32 v2, v[2:3]
	v_cvt_f32_f64_e32 v3, v[4:5]
	global_store_dwordx2 v[6:7], v[2:3], off
	global_load_dwordx2 v[8:9], v[10:11], off offset:2728
	v_add_u32_e32 v2, 0x2800, v122
	ds_read2_b64 v[2:5], v2 offset0:85 offset1:190
	v_mad_u64_u32 v[6:7], s[4:5], s8, v12, v[6:7]
	v_add_u32_e32 v7, s2, v7
	s_waitcnt vmcnt(0) lgkmcnt(0)
	v_mul_f32_e32 v13, v3, v9
	v_mul_f32_e32 v9, v2, v9
	v_fmac_f32_e32 v13, v2, v8
	v_fma_f32 v8, v8, v3, -v9
	v_cvt_f64_f32_e32 v[2:3], v13
	v_cvt_f64_f32_e32 v[8:9], v8
	v_mul_f64 v[2:3], v[2:3], s[0:1]
	v_mul_f64 v[8:9], v[8:9], s[0:1]
	v_cvt_f32_f64_e32 v2, v[2:3]
	v_cvt_f32_f64_e32 v3, v[8:9]
	global_store_dwordx2 v[6:7], v[2:3], off
	global_load_dwordx2 v[2:3], v[10:11], off offset:3568
	v_add_co_u32_e32 v8, vcc, s3, v0
	v_mad_u64_u32 v[6:7], s[4:5], s8, v12, v[6:7]
	s_nop 0
	v_addc_co_u32_e32 v9, vcc, 0, v1, vcc
	v_add_u32_e32 v7, s2, v7
	s_waitcnt vmcnt(0)
	v_mul_f32_e32 v0, v5, v3
	v_mul_f32_e32 v1, v4, v3
	v_fmac_f32_e32 v0, v4, v2
	v_fma_f32 v2, v2, v5, -v1
	v_cvt_f64_f32_e32 v[0:1], v0
	v_cvt_f64_f32_e32 v[2:3], v2
	v_mul_f64 v[0:1], v[0:1], s[0:1]
	v_mul_f64 v[2:3], v[2:3], s[0:1]
	v_cvt_f32_f64_e32 v0, v[0:1]
	v_cvt_f32_f64_e32 v1, v[2:3]
	global_store_dwordx2 v[6:7], v[0:1], off
	global_load_dwordx2 v[4:5], v[8:9], off offset:312
	v_add_u32_e32 v0, 0x3000, v122
	ds_read2_b64 v[0:3], v0 offset0:39 offset1:144
	v_mad_u64_u32 v[6:7], s[4:5], s8, v12, v[6:7]
	v_add_u32_e32 v7, s2, v7
	s_waitcnt vmcnt(0) lgkmcnt(0)
	v_mul_f32_e32 v10, v1, v5
	v_mul_f32_e32 v5, v0, v5
	v_fmac_f32_e32 v10, v0, v4
	v_fma_f32 v4, v4, v1, -v5
	v_cvt_f64_f32_e32 v[0:1], v10
	v_cvt_f64_f32_e32 v[4:5], v4
	v_mul_f64 v[0:1], v[0:1], s[0:1]
	v_mul_f64 v[4:5], v[4:5], s[0:1]
	v_cvt_f32_f64_e32 v0, v[0:1]
	v_cvt_f32_f64_e32 v1, v[4:5]
	global_store_dwordx2 v[6:7], v[0:1], off
	global_load_dwordx2 v[0:1], v[8:9], off offset:1152
	v_mad_u64_u32 v[4:5], s[4:5], s8, v12, v[6:7]
	v_add_u32_e32 v5, s2, v5
	s_waitcnt vmcnt(0)
	v_mul_f32_e32 v6, v3, v1
	v_mul_f32_e32 v1, v2, v1
	v_fmac_f32_e32 v6, v2, v0
	v_fma_f32 v2, v0, v3, -v1
	v_cvt_f64_f32_e32 v[0:1], v6
	v_cvt_f64_f32_e32 v[2:3], v2
	v_mul_f64 v[0:1], v[0:1], s[0:1]
	v_mul_f64 v[2:3], v[2:3], s[0:1]
	v_cvt_f32_f64_e32 v0, v[0:1]
	v_cvt_f32_f64_e32 v1, v[2:3]
	global_store_dwordx2 v[4:5], v[0:1], off
.LBB0_23:
	s_endpgm
	.section	.rodata,"a",@progbits
	.p2align	6, 0x0
	.amdhsa_kernel bluestein_single_fwd_len1785_dim1_sp_op_CI_CI
		.amdhsa_group_segment_fixed_size 14280
		.amdhsa_private_segment_fixed_size 0
		.amdhsa_kernarg_size 104
		.amdhsa_user_sgpr_count 2
		.amdhsa_user_sgpr_dispatch_ptr 0
		.amdhsa_user_sgpr_queue_ptr 0
		.amdhsa_user_sgpr_kernarg_segment_ptr 1
		.amdhsa_user_sgpr_dispatch_id 0
		.amdhsa_user_sgpr_kernarg_preload_length 0
		.amdhsa_user_sgpr_kernarg_preload_offset 0
		.amdhsa_user_sgpr_private_segment_size 0
		.amdhsa_uses_dynamic_stack 0
		.amdhsa_enable_private_segment 0
		.amdhsa_system_sgpr_workgroup_id_x 1
		.amdhsa_system_sgpr_workgroup_id_y 0
		.amdhsa_system_sgpr_workgroup_id_z 0
		.amdhsa_system_sgpr_workgroup_info 0
		.amdhsa_system_vgpr_workitem_id 0
		.amdhsa_next_free_vgpr 358
		.amdhsa_next_free_sgpr 78
		.amdhsa_accum_offset 256
		.amdhsa_reserve_vcc 1
		.amdhsa_float_round_mode_32 0
		.amdhsa_float_round_mode_16_64 0
		.amdhsa_float_denorm_mode_32 3
		.amdhsa_float_denorm_mode_16_64 3
		.amdhsa_dx10_clamp 1
		.amdhsa_ieee_mode 1
		.amdhsa_fp16_overflow 0
		.amdhsa_tg_split 0
		.amdhsa_exception_fp_ieee_invalid_op 0
		.amdhsa_exception_fp_denorm_src 0
		.amdhsa_exception_fp_ieee_div_zero 0
		.amdhsa_exception_fp_ieee_overflow 0
		.amdhsa_exception_fp_ieee_underflow 0
		.amdhsa_exception_fp_ieee_inexact 0
		.amdhsa_exception_int_div_zero 0
	.end_amdhsa_kernel
	.text
.Lfunc_end0:
	.size	bluestein_single_fwd_len1785_dim1_sp_op_CI_CI, .Lfunc_end0-bluestein_single_fwd_len1785_dim1_sp_op_CI_CI
                                        ; -- End function
	.section	.AMDGPU.csdata,"",@progbits
; Kernel info:
; codeLenInByte = 24404
; NumSgprs: 84
; NumVgprs: 256
; NumAgprs: 102
; TotalNumVgprs: 358
; ScratchSize: 0
; MemoryBound: 0
; FloatMode: 240
; IeeeMode: 1
; LDSByteSize: 14280 bytes/workgroup (compile time only)
; SGPRBlocks: 10
; VGPRBlocks: 44
; NumSGPRsForWavesPerEU: 84
; NumVGPRsForWavesPerEU: 358
; AccumOffset: 256
; Occupancy: 1
; WaveLimiterHint : 1
; COMPUTE_PGM_RSRC2:SCRATCH_EN: 0
; COMPUTE_PGM_RSRC2:USER_SGPR: 2
; COMPUTE_PGM_RSRC2:TRAP_HANDLER: 0
; COMPUTE_PGM_RSRC2:TGID_X_EN: 1
; COMPUTE_PGM_RSRC2:TGID_Y_EN: 0
; COMPUTE_PGM_RSRC2:TGID_Z_EN: 0
; COMPUTE_PGM_RSRC2:TIDIG_COMP_CNT: 0
; COMPUTE_PGM_RSRC3_GFX90A:ACCUM_OFFSET: 63
; COMPUTE_PGM_RSRC3_GFX90A:TG_SPLIT: 0
	.text
	.p2alignl 6, 3212836864
	.fill 256, 4, 3212836864
	.type	__hip_cuid_3785016ca2ec50d5,@object ; @__hip_cuid_3785016ca2ec50d5
	.section	.bss,"aw",@nobits
	.globl	__hip_cuid_3785016ca2ec50d5
__hip_cuid_3785016ca2ec50d5:
	.byte	0                               ; 0x0
	.size	__hip_cuid_3785016ca2ec50d5, 1

	.ident	"AMD clang version 19.0.0git (https://github.com/RadeonOpenCompute/llvm-project roc-6.4.0 25133 c7fe45cf4b819c5991fe208aaa96edf142730f1d)"
	.section	".note.GNU-stack","",@progbits
	.addrsig
	.addrsig_sym __hip_cuid_3785016ca2ec50d5
	.amdgpu_metadata
---
amdhsa.kernels:
  - .agpr_count:     102
    .args:
      - .actual_access:  read_only
        .address_space:  global
        .offset:         0
        .size:           8
        .value_kind:     global_buffer
      - .actual_access:  read_only
        .address_space:  global
        .offset:         8
        .size:           8
        .value_kind:     global_buffer
      - .actual_access:  read_only
        .address_space:  global
        .offset:         16
        .size:           8
        .value_kind:     global_buffer
      - .actual_access:  read_only
        .address_space:  global
        .offset:         24
        .size:           8
        .value_kind:     global_buffer
      - .actual_access:  read_only
        .address_space:  global
        .offset:         32
        .size:           8
        .value_kind:     global_buffer
      - .offset:         40
        .size:           8
        .value_kind:     by_value
      - .address_space:  global
        .offset:         48
        .size:           8
        .value_kind:     global_buffer
      - .address_space:  global
        .offset:         56
        .size:           8
        .value_kind:     global_buffer
      - .address_space:  global
        .offset:         64
        .size:           8
        .value_kind:     global_buffer
      - .address_space:  global
        .offset:         72
        .size:           8
        .value_kind:     global_buffer
      - .offset:         80
        .size:           4
        .value_kind:     by_value
      - .address_space:  global
        .offset:         88
        .size:           8
        .value_kind:     global_buffer
      - .address_space:  global
        .offset:         96
        .size:           8
        .value_kind:     global_buffer
    .group_segment_fixed_size: 14280
    .kernarg_segment_align: 8
    .kernarg_segment_size: 104
    .language:       OpenCL C
    .language_version:
      - 2
      - 0
    .max_flat_workgroup_size: 119
    .name:           bluestein_single_fwd_len1785_dim1_sp_op_CI_CI
    .private_segment_fixed_size: 0
    .sgpr_count:     84
    .sgpr_spill_count: 0
    .symbol:         bluestein_single_fwd_len1785_dim1_sp_op_CI_CI.kd
    .uniform_work_group_size: 1
    .uses_dynamic_stack: false
    .vgpr_count:     358
    .vgpr_spill_count: 0
    .wavefront_size: 64
amdhsa.target:   amdgcn-amd-amdhsa--gfx950
amdhsa.version:
  - 1
  - 2
...

	.end_amdgpu_metadata
